;; amdgpu-corpus repo=ROCm/rocFFT kind=compiled arch=gfx1201 opt=O3
	.text
	.amdgcn_target "amdgcn-amd-amdhsa--gfx1201"
	.amdhsa_code_object_version 6
	.protected	bluestein_single_fwd_len1925_dim1_half_op_CI_CI ; -- Begin function bluestein_single_fwd_len1925_dim1_half_op_CI_CI
	.globl	bluestein_single_fwd_len1925_dim1_half_op_CI_CI
	.p2align	8
	.type	bluestein_single_fwd_len1925_dim1_half_op_CI_CI,@function
bluestein_single_fwd_len1925_dim1_half_op_CI_CI: ; @bluestein_single_fwd_len1925_dim1_half_op_CI_CI
; %bb.0:
	s_load_b128 s[16:19], s[0:1], 0x28
	v_mul_u32_u24_e32 v1, 0x4a8, v0
	s_mov_b32 s2, exec_lo
	v_mov_b32_e32 v89, 0
	s_delay_alu instid0(VALU_DEP_2) | instskip(NEXT) | instid1(VALU_DEP_1)
	v_lshrrev_b32_e32 v1, 16, v1
	v_add_nc_u32_e32 v88, ttmp9, v1
	s_wait_kmcnt 0x0
	s_delay_alu instid0(VALU_DEP_1)
	v_cmpx_gt_u64_e64 s[16:17], v[88:89]
	s_cbranch_execz .LBB0_10
; %bb.1:
	s_clause 0x1
	s_load_b128 s[4:7], s[0:1], 0x18
	s_load_b128 s[8:11], s[0:1], 0x0
	v_mul_lo_u16 v1, v1, 55
	s_delay_alu instid0(VALU_DEP_1) | instskip(NEXT) | instid1(VALU_DEP_1)
	v_sub_nc_u16 v0, v0, v1
	v_and_b32_e32 v198, 0xffff, v0
	v_mul_lo_u16 v44, v0, 7
	s_delay_alu instid0(VALU_DEP_2)
	v_add_co_u32 v70, null, 0xa5, v198
	s_wait_kmcnt 0x0
	s_load_b128 s[12:15], s[4:5], 0x0
	s_movk_i32 s4, 0xe714
	s_mov_b32 s5, -1
	s_wait_kmcnt 0x0
	v_mad_co_u64_u32 v[1:2], null, s14, v88, 0
	v_mad_co_u64_u32 v[3:4], null, s12, v198, 0
	s_mul_u64 s[2:3], s[12:13], 0x44c
	s_mul_u64 s[4:5], s[12:13], s[4:5]
	s_delay_alu instid0(VALU_DEP_1) | instskip(NEXT) | instid1(VALU_DEP_1)
	v_mad_co_u64_u32 v[5:6], null, s15, v88, v[2:3]
	v_dual_mov_b32 v2, v5 :: v_dual_lshlrev_b32 v139, 2, v198
	s_delay_alu instid0(VALU_DEP_3)
	v_mad_co_u64_u32 v[6:7], null, s13, v198, v[4:5]
	s_clause 0xa
	global_load_b32 v196, v139, s[8:9] offset:3300
	global_load_b32 v192, v139, s[8:9] offset:6600
	;; [unrolled: 1-line block ×6, first 2 shown]
	global_load_b32 v206, v139, s[8:9]
	global_load_b32 v191, v139, s[8:9] offset:220
	global_load_b32 v177, v139, s[8:9] offset:440
	;; [unrolled: 1-line block ×4, first 2 shown]
	v_lshlrev_b64_e32 v[1:2], 2, v[1:2]
	v_add_nc_u32_e32 v7, 0x400, v139
	s_clause 0xa
	global_load_b32 v203, v139, s[8:9] offset:2200
	global_load_b32 v188, v139, s[8:9] offset:2420
	;; [unrolled: 1-line block ×11, first 2 shown]
	v_mov_b32_e32 v4, v6
	s_clause 0x3
	global_load_b32 v197, v139, s[8:9] offset:5500
	global_load_b32 v182, v139, s[8:9] offset:5720
	global_load_b32 v86, v139, s[8:9] offset:5940
	global_load_b32 v69, v139, s[8:9] offset:6160
	v_add_co_u32 v1, vcc_lo, s18, v1
	v_add_co_ci_u32_e32 v2, vcc_lo, s19, v2, vcc_lo
	v_lshlrev_b64_e32 v[3:4], 2, v[3:4]
	s_clause 0x7
	global_load_b32 v84, v139, s[8:9] offset:7040
	global_load_b32 v66, v139, s[8:9] offset:7260
	;; [unrolled: 1-line block ×8, first 2 shown]
	v_add_nc_u32_e32 v6, 0x1000, v139
	v_add_nc_u32_e32 v5, 0x1400, v139
	v_add_co_u32 v1, vcc_lo, v1, v3
	s_wait_alu 0xfffd
	v_add_co_ci_u32_e32 v2, vcc_lo, v2, v4, vcc_lo
	v_add_nc_u32_e32 v45, 0xa00, v139
	s_delay_alu instid0(VALU_DEP_3) | instskip(SKIP_1) | instid1(VALU_DEP_3)
	v_add_co_u32 v3, vcc_lo, v1, s2
	s_wait_alu 0xfffd
	v_add_co_ci_u32_e32 v4, vcc_lo, s3, v2, vcc_lo
	global_load_b32 v9, v[1:2], off
	v_add_co_u32 v1, vcc_lo, v3, s2
	s_wait_alu 0xfffd
	v_add_co_ci_u32_e32 v2, vcc_lo, s3, v4, vcc_lo
	global_load_b32 v10, v[3:4], off
	global_load_b32 v54, v139, s[8:9] offset:7480
	global_load_b32 v11, v[1:2], off
	v_add_co_u32 v1, vcc_lo, v1, s2
	s_wait_alu 0xfffd
	v_add_co_ci_u32_e32 v2, vcc_lo, s3, v2, vcc_lo
	v_add_nc_u32_e32 v46, 0xe00, v139
	s_delay_alu instid0(VALU_DEP_3) | instskip(SKIP_1) | instid1(VALU_DEP_3)
	v_add_co_u32 v3, vcc_lo, v1, s2
	s_wait_alu 0xfffd
	v_add_co_ci_u32_e32 v4, vcc_lo, s3, v2, vcc_lo
	global_load_b32 v12, v[1:2], off
	v_add_nc_u32_e32 v8, 0x1a00, v139
	v_add_nc_u32_e32 v47, 0x1c00, v139
	global_load_b32 v13, v[3:4], off
	v_add_co_u32 v1, vcc_lo, v3, s2
	s_wait_alu 0xfffd
	v_add_co_ci_u32_e32 v2, vcc_lo, s3, v4, vcc_lo
	s_delay_alu instid0(VALU_DEP_2) | instskip(SKIP_1) | instid1(VALU_DEP_2)
	v_add_co_u32 v3, vcc_lo, v1, s2
	s_wait_alu 0xfffd
	v_add_co_ci_u32_e32 v4, vcc_lo, s3, v2, vcc_lo
	global_load_b32 v14, v[1:2], off
	v_add_co_u32 v1, vcc_lo, v3, s4
	s_wait_alu 0xfffd
	v_add_co_ci_u32_e32 v2, vcc_lo, s5, v4, vcc_lo
	global_load_b32 v15, v[3:4], off
	;; [unrolled: 4-line block ×3, first 2 shown]
	global_load_b32 v17, v[3:4], off
	v_add_co_u32 v1, vcc_lo, v3, s2
	s_wait_alu 0xfffd
	v_add_co_ci_u32_e32 v2, vcc_lo, s3, v4, vcc_lo
	global_load_b32 v18, v[1:2], off
	v_add_co_u32 v1, vcc_lo, v1, s2
	s_wait_alu 0xfffd
	v_add_co_ci_u32_e32 v2, vcc_lo, s3, v2, vcc_lo
	s_delay_alu instid0(VALU_DEP_2) | instskip(SKIP_1) | instid1(VALU_DEP_2)
	v_add_co_u32 v3, vcc_lo, v1, s2
	s_wait_alu 0xfffd
	v_add_co_ci_u32_e32 v4, vcc_lo, s3, v2, vcc_lo
	global_load_b32 v19, v[1:2], off
	v_add_co_u32 v1, vcc_lo, v3, s2
	s_wait_alu 0xfffd
	v_add_co_ci_u32_e32 v2, vcc_lo, s3, v4, vcc_lo
	global_load_b32 v20, v[3:4], off
	;; [unrolled: 4-line block ×3, first 2 shown]
	global_load_b32 v22, v[3:4], off
	v_add_co_u32 v1, vcc_lo, v3, s4
	s_wait_alu 0xfffd
	v_add_co_ci_u32_e32 v2, vcc_lo, s5, v4, vcc_lo
	s_delay_alu instid0(VALU_DEP_2) | instskip(SKIP_1) | instid1(VALU_DEP_2)
	v_add_co_u32 v3, vcc_lo, v1, s2
	s_wait_alu 0xfffd
	v_add_co_ci_u32_e32 v4, vcc_lo, s3, v2, vcc_lo
	global_load_b32 v23, v[1:2], off
	v_add_co_u32 v1, vcc_lo, v3, s2
	s_wait_alu 0xfffd
	v_add_co_ci_u32_e32 v2, vcc_lo, s3, v4, vcc_lo
	global_load_b32 v24, v[3:4], off
	v_add_co_u32 v3, vcc_lo, v1, s2
	s_wait_alu 0xfffd
	v_add_co_ci_u32_e32 v4, vcc_lo, s3, v2, vcc_lo
	global_load_b32 v25, v[1:2], off
	global_load_b32 v26, v[3:4], off
	v_add_co_u32 v1, vcc_lo, v3, s2
	s_wait_alu 0xfffd
	v_add_co_ci_u32_e32 v2, vcc_lo, s3, v4, vcc_lo
	s_delay_alu instid0(VALU_DEP_2) | instskip(SKIP_1) | instid1(VALU_DEP_2)
	v_add_co_u32 v3, vcc_lo, v1, s2
	s_wait_alu 0xfffd
	v_add_co_ci_u32_e32 v4, vcc_lo, s3, v2, vcc_lo
	global_load_b32 v27, v[1:2], off
	global_load_b32 v28, v[3:4], off
	v_add_co_u32 v1, vcc_lo, v3, s2
	s_wait_alu 0xfffd
	v_add_co_ci_u32_e32 v2, vcc_lo, s3, v4, vcc_lo
	s_delay_alu instid0(VALU_DEP_2) | instskip(SKIP_1) | instid1(VALU_DEP_2)
	v_add_co_u32 v3, vcc_lo, v1, s4
	s_wait_alu 0xfffd
	v_add_co_ci_u32_e32 v4, vcc_lo, s5, v2, vcc_lo
	global_load_b32 v29, v[1:2], off
	;; [unrolled: 9-line block ×4, first 2 shown]
	v_add_co_u32 v1, vcc_lo, v3, s2
	s_wait_alu 0xfffd
	v_add_co_ci_u32_e32 v2, vcc_lo, s3, v4, vcc_lo
	global_load_b32 v34, v[3:4], off
	global_load_b32 v35, v[1:2], off
	v_add_co_u32 v1, vcc_lo, v1, s2
	s_wait_alu 0xfffd
	v_add_co_ci_u32_e32 v2, vcc_lo, s3, v2, vcc_lo
	s_delay_alu instid0(VALU_DEP_2) | instskip(SKIP_1) | instid1(VALU_DEP_2)
	v_add_co_u32 v3, vcc_lo, v1, s4
	s_wait_alu 0xfffd
	v_add_co_ci_u32_e32 v4, vcc_lo, s5, v2, vcc_lo
	global_load_b32 v36, v[1:2], off
	v_add_co_u32 v1, vcc_lo, v3, s2
	s_wait_alu 0xfffd
	v_add_co_ci_u32_e32 v2, vcc_lo, s3, v4, vcc_lo
	global_load_b32 v37, v[3:4], off
	;; [unrolled: 4-line block ×3, first 2 shown]
	global_load_b32 v39, v[3:4], off
	v_add_co_u32 v1, vcc_lo, v3, s2
	s_wait_alu 0xfffd
	v_add_co_ci_u32_e32 v2, vcc_lo, s3, v4, vcc_lo
	s_delay_alu instid0(VALU_DEP_2) | instskip(SKIP_1) | instid1(VALU_DEP_2)
	v_add_co_u32 v3, vcc_lo, v1, s2
	s_wait_alu 0xfffd
	v_add_co_ci_u32_e32 v4, vcc_lo, s3, v2, vcc_lo
	global_load_b32 v40, v[1:2], off
	v_add_co_u32 v1, vcc_lo, v3, s2
	s_wait_alu 0xfffd
	v_add_co_ci_u32_e32 v2, vcc_lo, s3, v4, vcc_lo
	global_load_b32 v41, v[3:4], off
	;; [unrolled: 4-line block ×3, first 2 shown]
	global_load_b32 v43, v[3:4], off
	s_load_b128 s[4:7], s[6:7], 0x0
	s_load_b64 s[2:3], s[0:1], 0x38
	v_add_co_u32 v72, s0, v198, 55
	v_add_nc_u32_e32 v4, 0x800, v139
	s_wait_alu 0xf1ff
	v_add_co_ci_u32_e64 v68, null, 0, 0, s0
	v_add_co_u32 v71, s0, 0x6e, v198
	s_wait_alu 0xf1ff
	v_add_co_ci_u32_e64 v1, null, 0, 0, s0
	v_add_nc_u32_e32 v1, 0xc00, v139
	v_add_nc_u32_e32 v2, 0x1800, v139
	v_add_nc_u32_e32 v3, 0x1200, v139
	v_cmp_gt_u16_e32 vcc_lo, 10, v0
	s_wait_loadcnt 0x3e
	v_lshrrev_b32_e32 v109, 16, v196
	v_lshrrev_b32_e32 v106, 16, v192
	;; [unrolled: 1-line block ×7, first 2 shown]
	s_wait_loadcnt 0x3a
	v_lshrrev_b32_e32 v110, 16, v203
	v_lshrrev_b32_e32 v53, 16, v191
	s_wait_loadcnt 0x39
	v_lshrrev_b32_e32 v104, 16, v188
	v_lshrrev_b32_e32 v99, 16, v177
	;; [unrolled: 3-line block ×5, first 2 shown]
	v_lshrrev_b32_e32 v96, 16, v91
	v_lshrrev_b32_e32 v95, 16, v89
	s_wait_loadcnt 0x2d
	v_lshrrev_b32_e32 v92, 16, v86
	s_wait_loadcnt 0x2b
	v_lshrrev_b32_e32 v90, 16, v84
	v_lshrrev_b32_e32 v87, 16, v82
	;; [unrolled: 1-line block ×7, first 2 shown]
	s_wait_loadcnt 0x2a
	v_lshrrev_b32_e32 v75, 16, v66
	s_wait_loadcnt 0x29
	v_lshrrev_b32_e32 v73, 16, v64
	;; [unrolled: 2-line block ×3, first 2 shown]
	v_lshrrev_b32_e32 v65, 16, v61
	s_wait_loadcnt 0x26
	v_lshrrev_b32_e32 v62, 16, v59
	s_wait_loadcnt 0x24
	v_lshrrev_b32_e32 v60, 16, v57
	v_lshrrev_b32_e32 v58, 16, v55
	s_wait_loadcnt 0x23
	v_lshrrev_b32_e32 v48, 16, v9
	v_mul_f16_e32 v49, v50, v9
	s_wait_loadcnt 0x22
	v_lshrrev_b32_e32 v51, 16, v10
	s_delay_alu instid0(VALU_DEP_3)
	v_mul_f16_e32 v50, v50, v48
	v_mul_f16_e32 v52, v111, v10
	v_fma_f16 v48, v206, v48, -v49
	s_wait_loadcnt 0x20
	v_lshrrev_b32_e32 v49, 16, v11
	v_lshrrev_b32_e32 v56, 16, v54
	v_fmac_f16_e64 v50, v206, v9
	v_mul_f16_e32 v9, v111, v51
	v_fma_f16 v51, v204, v51, -v52
	v_mul_f16_e32 v52, v110, v11
	s_delay_alu instid0(VALU_DEP_4) | instskip(NEXT) | instid1(VALU_DEP_4)
	v_pack_b32_f16 v48, v50, v48
	v_fmac_f16_e64 v9, v204, v10
	v_mul_f16_e32 v10, v110, v49
	s_wait_loadcnt 0x1f
	v_lshrrev_b32_e32 v50, 16, v12
	v_fma_f16 v49, v203, v49, -v52
	v_mul_f16_e32 v52, v109, v12
	v_pack_b32_f16 v9, v9, v51
	v_fmac_f16_e64 v10, v203, v11
	v_mul_f16_e32 v11, v109, v50
	s_wait_loadcnt 0x1e
	v_lshrrev_b32_e32 v51, 16, v13
	v_fma_f16 v50, v196, v50, -v52
	v_mul_f16_e32 v52, v108, v13
	;; [unrolled: 7-line block ×5, first 2 shown]
	v_pack_b32_f16 v13, v13, v49
	v_fmac_f16_e64 v14, v192, v15
	v_mul_f16_e32 v15, v53, v51
	s_wait_loadcnt 0x1a
	v_lshrrev_b32_e32 v49, 16, v17
	v_mul_f16_e32 v53, v105, v17
	v_fma_f16 v51, v191, v51, -v52
	v_pack_b32_f16 v14, v14, v50
	s_wait_loadcnt 0x19
	v_lshrrev_b32_e32 v50, 16, v18
	v_fmac_f16_e64 v15, v191, v16
	v_mul_f16_e32 v16, v105, v49
	v_mul_f16_e32 v52, v104, v18
	ds_store_b32 v139, v9 offset:1100
	ds_store_b32 v139, v10 offset:2200
	ds_store_b32 v139, v11 offset:3300
	ds_store_b32 v139, v12 offset:4400
	ds_store_b32 v139, v13 offset:5500
	ds_store_b32 v139, v14 offset:6600
	v_mul_f16_e32 v10, v104, v50
	v_fma_f16 v49, v189, v49, -v53
	s_wait_loadcnt 0x18
	v_lshrrev_b32_e32 v12, 16, v19
	v_pack_b32_f16 v9, v15, v51
	v_fmac_f16_e64 v16, v189, v17
	v_fma_f16 v11, v188, v50, -v52
	v_mul_f16_e32 v13, v103, v19
	v_fmac_f16_e64 v10, v188, v18
	v_mul_f16_e32 v14, v103, v12
	s_wait_loadcnt 0x17
	v_lshrrev_b32_e32 v15, 16, v20
	ds_store_2addr_b32 v139, v48, v9 offset1:55
	v_pack_b32_f16 v9, v16, v49
	v_fma_f16 v12, v186, v12, -v13
	v_mul_f16_e32 v13, v102, v20
	v_pack_b32_f16 v10, v10, v11
	v_fmac_f16_e64 v14, v186, v19
	v_mul_f16_e32 v11, v102, v15
	s_wait_loadcnt 0x16
	v_lshrrev_b32_e32 v16, 16, v21
	v_fma_f16 v13, v184, v15, -v13
	v_mul_f16_e32 v15, v101, v21
	v_pack_b32_f16 v12, v14, v12
	v_fmac_f16_e64 v11, v184, v20
	v_mul_f16_e32 v14, v101, v16
	s_wait_loadcnt 0x15
	v_lshrrev_b32_e32 v17, 16, v22
	;; [unrolled: 7-line block ×5, first 2 shown]
	v_fma_f16 v18, v94, v19, -v18
	v_mul_f16_e32 v19, v97, v25
	v_pack_b32_f16 v15, v15, v17
	v_fmac_f16_e32 v16, v94, v24
	v_mul_f16_e32 v17, v97, v20
	s_wait_loadcnt 0x11
	v_lshrrev_b32_e32 v21, 16, v26
	v_mul_f16_e32 v22, v96, v26
	v_fma_f16 v19, v93, v20, -v19
	v_pack_b32_f16 v16, v16, v18
	v_fmac_f16_e32 v17, v93, v25
	v_mul_f16_e32 v18, v96, v21
	v_fma_f16 v20, v91, v21, -v22
	s_wait_loadcnt 0x10
	v_lshrrev_b32_e32 v21, 16, v27
	v_mul_f16_e32 v22, v95, v27
	ds_store_2addr_b32 v7, v9, v16 offset0:74 offset1:129
	v_pack_b32_f16 v9, v17, v19
	v_fmac_f16_e32 v18, v91, v26
	v_mul_f16_e32 v16, v95, v21
	v_fma_f16 v17, v89, v21, -v22
	s_wait_loadcnt 0xf
	v_lshrrev_b32_e32 v19, 16, v28
	v_mul_f16_e32 v21, v92, v28
	ds_store_2addr_b32 v4, v10, v9 offset0:93 offset1:148
	;; [unrolled: 8-line block ×5, first 2 shown]
	v_pack_b32_f16 v9, v12, v16
	v_fmac_f16_e32 v10, v82, v30
	v_mul_f16_e32 v12, v85, v17
	s_wait_loadcnt 0xb
	v_lshrrev_b32_e32 v16, 16, v32
	v_fma_f16 v14, v80, v17, -v18
	v_mul_f16_e32 v17, v83, v32
	ds_store_2addr_b32 v2, v13, v9 offset0:169 offset1:224
	v_pack_b32_f16 v9, v10, v11
	v_fmac_f16_e32 v12, v80, v31
	v_mul_f16_e32 v10, v83, v16
	s_wait_loadcnt 0xa
	v_lshrrev_b32_e32 v13, 16, v33
	v_fma_f16 v11, v78, v16, -v17
	v_mul_f16_e32 v16, v81, v33
	ds_store_2addr_b32 v139, v15, v9 offset0:110 offset1:165
	v_pack_b32_f16 v9, v12, v14
	v_fmac_f16_e32 v10, v78, v32
	v_mul_f16_e32 v12, v81, v13
	s_wait_loadcnt 0x9
	v_lshrrev_b32_e32 v14, 16, v34
	v_fma_f16 v13, v76, v13, -v16
	v_mul_f16_e32 v15, v79, v34
	v_pack_b32_f16 v10, v10, v11
	v_fmac_f16_e32 v12, v76, v33
	v_mul_f16_e32 v11, v79, v14
	s_wait_loadcnt 0x8
	v_lshrrev_b32_e32 v16, 16, v35
	v_fma_f16 v14, v74, v14, -v15
	v_mul_f16_e32 v15, v77, v35
	;; [unrolled: 7-line block ×5, first 2 shown]
	v_pack_b32_f16 v14, v14, v16
	v_fmac_f16_e32 v15, v64, v37
	v_mul_f16_e32 v16, v67, v19
	s_wait_loadcnt 0x4
	v_lshrrev_b32_e32 v20, 16, v39
	v_mul_f16_e32 v21, v65, v39
	v_fma_f16 v18, v63, v19, -v18
	v_pack_b32_f16 v15, v15, v17
	v_fmac_f16_e32 v16, v63, v38
	v_mul_f16_e32 v17, v65, v20
	v_fma_f16 v19, v61, v20, -v21
	s_wait_loadcnt 0x3
	v_lshrrev_b32_e32 v20, 16, v40
	v_mul_f16_e32 v21, v62, v40
	ds_store_b32 v139, v15 offset:880
	v_pack_b32_f16 v15, v16, v18
	s_wait_loadcnt 0x0
	v_lshrrev_b32_e32 v22, 16, v43
	v_mul_f16_e32 v16, v62, v20
	v_fma_f16 v18, v59, v20, -v21
	v_lshrrev_b32_e32 v20, 16, v41
	v_mul_f16_e32 v21, v60, v41
	ds_store_2addr_b32 v7, v9, v15 offset0:184 offset1:239
	v_lshrrev_b32_e32 v9, 16, v42
	v_mul_f16_e32 v24, v56, v43
	v_mul_f16_e32 v15, v60, v20
	v_fma_f16 v20, v57, v20, -v21
	v_mul_f16_e32 v21, v58, v42
	v_mul_f16_e32 v23, v58, v9
	v_mul_f16_e32 v25, v56, v22
	v_fmac_f16_e32 v17, v61, v39
	v_fmac_f16_e32 v16, v59, v40
	;; [unrolled: 1-line block ×3, first 2 shown]
	v_fma_f16 v9, v55, v9, -v21
	v_fmac_f16_e32 v23, v55, v42
	v_fma_f16 v21, v54, v22, -v24
	v_fmac_f16_e32 v25, v54, v43
	v_pack_b32_f16 v17, v17, v19
	v_pack_b32_f16 v16, v16, v18
	;; [unrolled: 1-line block ×3, first 2 shown]
	s_clause 0x3
	scratch_store_b32 off, v74, off offset:64
	scratch_store_b32 off, v75, off offset:68
	;; [unrolled: 1-line block ×4, first 2 shown]
	v_pack_b32_f16 v9, v23, v9
	v_add_co_u32 v76, s0, 0xdc, v198
	v_pack_b32_f16 v18, v25, v21
	s_clause 0x1f
	scratch_store_b32 off, v91, off offset:128
	scratch_store_b32 off, v92, off offset:132
	scratch_store_b32 off, v94, off offset:140
	scratch_store_b32 off, v95, off offset:144
	scratch_store_b32 off, v98, off offset:156
	scratch_store_b32 off, v97, off offset:152
	scratch_store_b32 off, v96, off offset:148
	scratch_store_b32 off, v93, off offset:136
	scratch_store_b32 off, v90, off offset:124
	scratch_store_b32 off, v87, off offset:116
	scratch_store_b32 off, v82, off offset:96
	scratch_store_b32 off, v83, off offset:100
	scratch_store_b32 off, v84, off offset:104
	scratch_store_b32 off, v85, off offset:108
	scratch_store_b32 off, v86, off offset:112
	scratch_store_b32 off, v89, off offset:120
	scratch_store_b32 off, v78, off offset:80
	scratch_store_b32 off, v79, off offset:84
	scratch_store_b32 off, v80, off offset:88
	scratch_store_b32 off, v81, off offset:92
	scratch_store_b32 off, v73, off offset:60
	scratch_store_b32 off, v64, off offset:40
	scratch_store_b32 off, v65, off offset:44
	scratch_store_b32 off, v66, off offset:48
	scratch_store_b32 off, v67, off offset:52
	scratch_store_b32 off, v69, off offset:56
	scratch_store_b32 off, v63, off offset:36
	scratch_store_b32 off, v62, off offset:32
	scratch_store_b32 off, v60, off offset:24
	scratch_store_b32 off, v56, off offset:8
	scratch_store_b32 off, v57, off offset:12
	scratch_store_b32 off, v59, off offset:20
	s_clause 0x3
	scratch_store_b32 off, v61, off offset:28
	scratch_store_b32 off, v58, off offset:16
	;; [unrolled: 1-line block ×3, first 2 shown]
	scratch_store_b32 off, v54, off
	ds_store_2addr_b32 v45, v10, v17 offset0:75 offset1:130
	ds_store_2addr_b32 v46, v12, v16 offset0:94 offset1:149
	;; [unrolled: 1-line block ×5, first 2 shown]
	global_wb scope:SCOPE_SE
	s_wait_storecnt_dscnt 0x0
	s_wait_kmcnt 0x0
	s_barrier_signal -1
	s_barrier_wait -1
	global_inv scope:SCOPE_SE
	ds_load_2addr_b32 v[9:10], v7 offset0:74 offset1:129
	ds_load_2addr_b32 v[11:12], v4 offset0:38 offset1:93
	;; [unrolled: 1-line block ×6, first 2 shown]
	s_wait_alu 0xf1ff
	v_add_co_ci_u32_e64 v21, null, 0, 0, s0
	ds_load_2addr_b32 v[21:22], v8 offset0:96 offset1:151
	ds_load_2addr_b32 v[23:24], v4 offset0:148 offset1:203
	;; [unrolled: 1-line block ×3, first 2 shown]
	v_and_b32_e32 v33, 0xffff, v44
	v_mul_u32_u24_e32 v34, 7, v72
	v_mul_u32_u24_e32 v35, 7, v71
	ds_load_2addr_b32 v[27:28], v7 offset0:184 offset1:239
	ds_load_2addr_b32 v[29:30], v2 offset0:4 offset1:59
	ds_load_2addr_b32 v[31:32], v46 offset0:94 offset1:149
	v_mul_u32_u24_e32 v51, 7, v70
	v_lshlrev_b32_e32 v118, 2, v33
	v_lshlrev_b32_e32 v117, 2, v34
	;; [unrolled: 1-line block ×3, first 2 shown]
	ds_load_2addr_b32 v[33:34], v139 offset1:55
	ds_load_2addr_b32 v[35:36], v139 offset0:110 offset1:165
	v_lshlrev_b32_e32 v116, 2, v51
	v_add_co_u32 v103, s0, s8, v139
	s_wait_alu 0xf1ff
	v_add_co_ci_u32_e64 v104, null, s9, 0, s0
	s_wait_dscnt 0xa
	v_pk_add_f16 v39, v13, v16
	s_wait_dscnt 0x9
	v_pk_add_f16 v37, v9, v18
	;; [unrolled: 2-line block ×3, first 2 shown]
	v_pk_add_f16 v9, v9, v18 neg_lo:[0,1] neg_hi:[0,1]
	v_pk_add_f16 v12, v12, v19 neg_lo:[0,1] neg_hi:[0,1]
	;; [unrolled: 1-line block ×3, first 2 shown]
	s_wait_dscnt 0x7
	v_pk_add_f16 v16, v10, v21
	s_wait_dscnt 0x6
	v_pk_add_f16 v18, v23, v20
	;; [unrolled: 2-line block ×3, first 2 shown]
	v_pk_add_f16 v10, v10, v21 neg_lo:[0,1] neg_hi:[0,1]
	v_pk_add_f16 v20, v23, v20 neg_lo:[0,1] neg_hi:[0,1]
	v_pk_add_f16 v40, v38, v37
	v_pk_add_f16 v41, v38, v37 neg_lo:[0,1] neg_hi:[0,1]
	v_pk_add_f16 v42, v13, v12
	v_pk_add_f16 v43, v9, v13 neg_lo:[0,1] neg_hi:[0,1]
	v_pk_add_f16 v44, v12, v9 neg_lo:[0,1] neg_hi:[0,1]
	;; [unrolled: 1-line block ×3, first 2 shown]
	v_pk_add_f16 v13, v18, v16
	v_pk_add_f16 v14, v25, v14 neg_lo:[0,1] neg_hi:[0,1]
	v_pk_add_f16 v37, v37, v39 neg_lo:[0,1] neg_hi:[0,1]
	;; [unrolled: 1-line block ×6, first 2 shown]
	v_pk_add_f16 v39, v39, v40
	v_pk_add_f16 v9, v42, v9
	v_pk_mul_f16 v40, 0x39e0, v41 op_sel_hi:[0,1]
	v_pk_mul_f16 v41, 0x3574, v43 op_sel_hi:[0,1]
	;; [unrolled: 1-line block ×3, first 2 shown]
	v_pk_add_f16 v13, v19, v13
	v_pk_add_f16 v46, v14, v20
	v_pk_add_f16 v47, v10, v14 neg_lo:[0,1] neg_hi:[0,1]
	v_pk_add_f16 v18, v19, v18 neg_lo:[0,1] neg_hi:[0,1]
	;; [unrolled: 1-line block ×3, first 2 shown]
	v_pk_mul_f16 v37, 0x3a52, v37 op_sel_hi:[0,1]
	v_pk_mul_f16 v16, 0x3a52, v16 op_sel_hi:[0,1]
	;; [unrolled: 1-line block ×4, first 2 shown]
	s_wait_dscnt 0x1
	v_pk_add_f16 v34, v34, v39
	v_pk_fma_f16 v43, 0x3574, v43, v42 op_sel_hi:[0,1,1] neg_lo:[0,1,1] neg_hi:[0,1,1]
	v_pk_fma_f16 v42, 0xb846, v12, v42 op_sel_hi:[0,1,1] neg_lo:[0,1,0] neg_hi:[0,1,0]
	v_pk_fma_f16 v12, 0xb846, v12, v41 op_sel_hi:[0,1,1]
	s_wait_dscnt 0x0
	v_pk_add_f16 v35, v35, v13
	v_pk_add_f16 v10, v46, v10
	v_pk_add_f16 v46, v37, v40 op_sel:[1,1] op_sel_hi:[0,0] neg_lo:[1,1] neg_hi:[1,1]
	v_pk_fma_f16 v40, 0x2b26, v38, v40 op_sel_hi:[0,1,1] neg_lo:[0,1,0] neg_hi:[0,1,0]
	v_pk_fma_f16 v37, 0x2b26, v38, v37 op_sel_hi:[0,1,1]
	v_pk_add_f16 v38, v16, v19 op_sel:[1,1] op_sel_hi:[0,0] neg_lo:[1,1] neg_hi:[1,1]
	v_pk_fma_f16 v41, 0x3574, v47, v45 op_sel_hi:[0,1,1] neg_lo:[0,1,1] neg_hi:[0,1,1]
	v_pk_fma_f16 v19, 0x2b26, v18, v19 op_sel_hi:[0,1,1] neg_lo:[0,1,0] neg_hi:[0,1,0]
	;; [unrolled: 1-line block ×3, first 2 shown]
	v_pk_fma_f16 v16, 0x2b26, v18, v16 op_sel_hi:[0,1,1]
	v_pk_fma_f16 v18, 0x3cab, v39, v34 op_sel_hi:[0,1,1] neg_lo:[0,1,0] neg_hi:[0,1,0]
	v_pk_fma_f16 v39, 0x370e, v9, v43 op_sel_hi:[0,1,1]
	v_pk_fma_f16 v42, 0x370e, v9, v42 op_sel_hi:[0,1,1]
	v_pk_fma_f16 v9, 0x370e, v9, v12 op_sel_hi:[0,1,1]
	v_pk_fma_f16 v12, 0x3cab, v13, v35 op_sel_hi:[0,1,1] neg_lo:[0,1,0] neg_hi:[0,1,0]
	v_pk_add_f16 v21, v27, v22
	v_pk_add_f16 v23, v24, v29
	v_pk_mul_f16 v44, 0x3574, v47 op_sel_hi:[0,1]
	v_pk_fma_f16 v13, 0x370e, v10, v41 op_sel_hi:[0,1,1]
	v_pk_fma_f16 v41, 0x370e, v10, v45 op_sel_hi:[0,1,1]
	v_pk_add_f16 v43, v46, v18 op_sel:[0,1] op_sel_hi:[1,0]
	v_pk_add_f16 v40, v40, v18
	v_pk_add_f16 v18, v37, v18
	v_pk_add_f16 v37, v38, v12 op_sel:[0,1] op_sel_hi:[1,0]
	v_pk_add_f16 v19, v19, v12
	v_pk_add_f16 v25, v31, v26
	;; [unrolled: 1-line block ×3, first 2 shown]
	v_pk_fma_f16 v14, 0xb846, v14, v44 op_sel_hi:[0,1,1]
	v_pk_add_f16 v12, v16, v12
	v_pk_add_f16 v16, v43, v39
	v_pk_add_f16 v38, v43, v39 neg_lo:[0,1] neg_hi:[0,1]
	v_pk_add_f16 v39, v40, v42 op_sel:[0,1] op_sel_hi:[1,0] neg_lo:[0,1] neg_hi:[0,1]
	v_pk_add_f16 v40, v40, v42 op_sel:[0,1] op_sel_hi:[1,0]
	v_pk_add_f16 v42, v18, v9 op_sel:[0,1] op_sel_hi:[1,0]
	v_pk_add_f16 v44, v18, v9 op_sel:[0,1] op_sel_hi:[1,0] neg_lo:[0,1] neg_hi:[0,1]
	v_pk_add_f16 v9, v37, v13
	v_pk_add_f16 v13, v37, v13 neg_lo:[0,1] neg_hi:[0,1]
	v_pk_add_f16 v18, v19, v41 op_sel:[0,1] op_sel_hi:[1,0] neg_lo:[0,1] neg_hi:[0,1]
	v_pk_add_f16 v19, v19, v41 op_sel:[0,1] op_sel_hi:[1,0]
	v_pk_add_f16 v20, v25, v20
	v_bfi_b32 v41, 0xffff, v39, v40
	v_bfi_b32 v39, 0xffff, v40, v39
	v_alignbit_b32 v40, v13, v9, 16
	v_bfi_b32 v45, 0xffff, v18, v19
	v_bfi_b32 v46, 0xffff, v19, v18
	v_alignbit_b32 v47, v9, v13, 16
	v_pk_fma_f16 v9, 0x370e, v10, v14 op_sel_hi:[0,1,1]
	v_pk_add_f16 v10, v27, v22 neg_lo:[0,1] neg_hi:[0,1]
	v_pk_add_f16 v13, v24, v29 neg_lo:[0,1] neg_hi:[0,1]
	;; [unrolled: 1-line block ×5, first 2 shown]
	v_pk_add_f16 v22, v36, v20
	v_pk_add_f16 v21, v13, v10 neg_lo:[0,1] neg_hi:[0,1]
	v_pk_add_f16 v24, v14, v13
	v_pk_mul_f16 v27, 0x3a52, v18 op_sel_hi:[0,1]
	v_pk_mul_f16 v18, 0x39e0, v19 op_sel_hi:[0,1]
	v_pk_add_f16 v26, v10, v14 neg_lo:[0,1] neg_hi:[0,1]
	v_pk_mul_f16 v19, 0x3b00, v21 op_sel_hi:[0,1]
	v_pk_add_f16 v24, v24, v10
	v_pk_fma_f16 v20, 0x3cab, v20, v22 op_sel_hi:[0,1,1] neg_lo:[0,1,0] neg_hi:[0,1,0]
	v_pk_add_f16 v10, v27, v18 op_sel:[1,1] op_sel_hi:[0,0] neg_lo:[1,1] neg_hi:[1,1]
	v_pk_add_f16 v23, v25, v23 neg_lo:[0,1] neg_hi:[0,1]
	v_pk_add_f16 v14, v14, v13 neg_lo:[0,1] neg_hi:[0,1]
	v_add_nc_u32_e32 v43, 0x200, v139
	v_pk_add_f16 v21, v12, v9 op_sel:[0,1] op_sel_hi:[1,0]
	v_pk_fma_f16 v29, 0x3574, v26, v19 op_sel_hi:[0,1,1] neg_lo:[0,1,1] neg_hi:[0,1,1]
	v_pk_add_f16 v31, v12, v9 op_sel:[0,1] op_sel_hi:[1,0] neg_lo:[0,1] neg_hi:[0,1]
	v_pk_add_f16 v25, v10, v20 op_sel:[0,1] op_sel_hi:[1,0]
	v_pk_fma_f16 v36, 0x2b26, v23, v18 op_sel_hi:[0,1,1] neg_lo:[0,1,0] neg_hi:[0,1,0]
	v_pk_fma_f16 v48, 0xb846, v14, v19 op_sel_hi:[0,1,1] neg_lo:[0,1,0] neg_hi:[0,1,0]
	ds_load_b32 v49, v139 offset:7480
	ds_load_2addr_b32 v[9:10], v1 offset0:2 offset1:57
	ds_load_2addr_b32 v[12:13], v43 offset0:92 offset1:147
	;; [unrolled: 1-line block ×3, first 2 shown]
	v_pk_fma_f16 v29, 0x370e, v24, v29 op_sel_hi:[0,1,1]
	v_pk_mul_f16 v26, 0x3574, v26 op_sel_hi:[0,1]
	v_pk_add_f16 v36, v36, v20
	v_pk_fma_f16 v48, 0x370e, v24, v48 op_sel_hi:[0,1,1]
	v_pk_fma_f16 v23, 0x2b26, v23, v27 op_sel_hi:[0,1,1]
	v_pk_add_f16 v52, v25, v29
	v_pk_add_f16 v25, v25, v29 neg_lo:[0,1] neg_hi:[0,1]
	v_pk_fma_f16 v14, 0xb846, v14, v26 op_sel_hi:[0,1,1]
	v_pk_add_f16 v29, v36, v48 op_sel:[0,1] op_sel_hi:[1,0] neg_lo:[0,1] neg_hi:[0,1]
	v_pk_add_f16 v36, v36, v48 op_sel:[0,1] op_sel_hi:[1,0]
	v_pk_add_f16 v20, v23, v20
	v_alignbit_b32 v37, v38, v16, 16
	v_pk_fma_f16 v14, 0x370e, v24, v14 op_sel_hi:[0,1,1]
	v_alignbit_b32 v16, v16, v38, 16
	v_bfi_b32 v48, 0xffff, v29, v36
	v_bfi_b32 v29, 0xffff, v36, v29
	;; [unrolled: 1-line block ×3, first 2 shown]
	s_wait_dscnt 0x2
	v_pk_add_f16 v54, v10, v15
	s_wait_dscnt 0x1
	v_pk_add_f16 v36, v13, v17
	;; [unrolled: 2-line block ×3, first 2 shown]
	v_pk_add_f16 v56, v20, v14 op_sel:[0,1] op_sel_hi:[1,0]
	v_pk_add_f16 v14, v20, v14 op_sel:[0,1] op_sel_hi:[1,0] neg_lo:[0,1] neg_hi:[0,1]
	v_mul_u32_u24_e32 v20, 7, v76
	v_pk_add_f16 v11, v11, v19 neg_lo:[0,1] neg_hi:[0,1]
	v_pk_add_f16 v55, v51, v36
	v_pk_add_f16 v10, v15, v10 neg_lo:[0,1] neg_hi:[0,1]
	v_pk_add_f16 v13, v13, v17 neg_lo:[0,1] neg_hi:[0,1]
	v_lshlrev_b32_e32 v115, 2, v20
	v_pk_add_f16 v15, v36, v54 neg_lo:[0,1] neg_hi:[0,1]
	v_pk_add_f16 v55, v54, v55
	v_pk_add_f16 v17, v51, v36 neg_lo:[0,1] neg_hi:[0,1]
	v_pk_add_f16 v19, v10, v11
	v_pk_add_f16 v36, v13, v10 neg_lo:[0,1] neg_hi:[0,1]
	v_pk_mul_f16 v15, 0x3a52, v15 op_sel_hi:[0,1]
	v_pk_add_f16 v20, v33, v55
	v_pk_add_f16 v33, v11, v13 neg_lo:[0,1] neg_hi:[0,1]
	v_pk_mul_f16 v17, 0x39e0, v17 op_sel_hi:[0,1]
	v_pk_add_f16 v13, v19, v13
	v_pk_add_f16 v51, v54, v51 neg_lo:[0,1] neg_hi:[0,1]
	v_pk_add_f16 v10, v10, v11 neg_lo:[0,1] neg_hi:[0,1]
	v_pk_mul_f16 v19, 0x3b00, v33 op_sel_hi:[0,1]
	v_pk_mul_f16 v11, 0x3574, v36 op_sel_hi:[0,1]
	v_pk_fma_f16 v33, 0x3cab, v55, v20 op_sel_hi:[0,1,1] neg_lo:[0,1,0] neg_hi:[0,1,0]
	v_pk_add_f16 v55, v15, v17 op_sel:[1,1] op_sel_hi:[0,0] neg_lo:[1,1] neg_hi:[1,1]
	v_pk_fma_f16 v17, 0x2b26, v51, v17 op_sel_hi:[0,1,1] neg_lo:[0,1,0] neg_hi:[0,1,0]
	v_pk_fma_f16 v36, 0x3574, v36, v19 op_sel_hi:[0,1,1] neg_lo:[0,1,1] neg_hi:[0,1,1]
	;; [unrolled: 1-line block ×3, first 2 shown]
	v_pk_fma_f16 v15, 0x2b26, v51, v15 op_sel_hi:[0,1,1]
	v_pk_fma_f16 v10, 0xb846, v10, v11 op_sel_hi:[0,1,1]
	v_pk_add_f16 v54, v55, v33 op_sel:[0,1] op_sel_hi:[1,0]
	v_pk_fma_f16 v11, 0x370e, v13, v36 op_sel_hi:[0,1,1]
	v_pk_add_f16 v17, v17, v33
	v_pk_fma_f16 v19, 0x370e, v13, v19 op_sel_hi:[0,1,1]
	v_pk_add_f16 v15, v15, v33
	;; [unrolled: 2-line block ×3, first 2 shown]
	v_pk_add_f16 v11, v54, v11 neg_lo:[0,1] neg_hi:[0,1]
	v_pk_add_f16 v33, v17, v19 op_sel:[0,1] op_sel_hi:[1,0] neg_lo:[0,1] neg_hi:[0,1]
	global_wb scope:SCOPE_SE
	v_pk_add_f16 v36, v15, v10 op_sel:[0,1] op_sel_hi:[1,0]
	v_pk_add_f16 v10, v15, v10 op_sel:[0,1] op_sel_hi:[1,0] neg_lo:[0,1] neg_hi:[0,1]
	v_pk_add_f16 v15, v17, v19 op_sel:[0,1] op_sel_hi:[1,0]
	v_alignbit_b32 v17, v11, v13, 16
	v_alignbit_b32 v11, v13, v11, 16
	v_bfi_b32 v13, 0xffff, v42, v44
	v_bfi_b32 v19, 0xffff, v36, v10
	;; [unrolled: 1-line block ×5, first 2 shown]
	s_barrier_signal -1
	s_barrier_wait -1
	global_inv scope:SCOPE_SE
	ds_store_2addr_b32 v118, v20, v19 offset1:1
	ds_store_2addr_b32 v118, v17, v51 offset0:2 offset1:3
	ds_store_2addr_b32 v118, v15, v11 offset0:4 offset1:5
	ds_store_b32 v118, v10 offset:24
	v_bfi_b32 v10, 0xffff, v21, v31
	v_bfi_b32 v50, 0xffff, v31, v21
	v_pk_add_f16 v23, v28, v49
	v_pk_add_f16 v26, v9, v30
	ds_store_2addr_b32 v117, v34, v13 offset1:1
	ds_store_2addr_b32 v117, v37, v41 offset0:2 offset1:3
	ds_store_2addr_b32 v117, v39, v16 offset0:4 offset1:5
	ds_store_b32 v117, v38 offset:24
	ds_store_2addr_b32 v114, v35, v10 offset1:1
	ds_store_2addr_b32 v114, v40, v45 offset0:2 offset1:3
	ds_store_2addr_b32 v114, v46, v47 offset0:4 offset1:5
	ds_store_b32 v114, v50 offset:24
	v_pk_add_f16 v9, v9, v30 neg_lo:[0,1] neg_hi:[0,1]
	v_pk_add_f16 v10, v18, v32 neg_lo:[0,1] neg_hi:[0,1]
	v_pk_add_f16 v11, v28, v49 neg_lo:[0,1] neg_hi:[0,1]
	v_pk_add_f16 v24, v32, v18
	v_pk_add_f16 v53, v26, v23
	v_pk_add_f16 v15, v26, v23 neg_lo:[0,1] neg_hi:[0,1]
	v_pk_add_f16 v16, v10, v9
	v_pk_add_f16 v17, v9, v11 neg_lo:[0,1] neg_hi:[0,1]
	v_pk_add_f16 v13, v23, v24 neg_lo:[0,1] neg_hi:[0,1]
	v_pk_add_f16 v53, v24, v53
	v_pk_add_f16 v18, v11, v10 neg_lo:[0,1] neg_hi:[0,1]
	v_pk_add_f16 v11, v16, v11
	v_pk_mul_f16 v16, 0x3b00, v17 op_sel_hi:[0,1]
	v_pk_mul_f16 v13, 0x3a52, v13 op_sel_hi:[0,1]
	v_pk_add_f16 v12, v12, v53
	v_pk_mul_f16 v15, 0x39e0, v15 op_sel_hi:[0,1]
	v_pk_add_f16 v20, v24, v26 neg_lo:[0,1] neg_hi:[0,1]
	v_pk_add_f16 v9, v10, v9 neg_lo:[0,1] neg_hi:[0,1]
	v_pk_fma_f16 v10, 0x3574, v18, v16 op_sel_hi:[0,1,1] neg_lo:[0,1,1] neg_hi:[0,1,1]
	v_pk_mul_f16 v18, 0x3574, v18 op_sel_hi:[0,1]
	v_pk_fma_f16 v17, 0x3cab, v53, v12 op_sel_hi:[0,1,1] neg_lo:[0,1,0] neg_hi:[0,1,0]
	v_pk_add_f16 v19, v13, v15 op_sel:[1,1] op_sel_hi:[0,0] neg_lo:[1,1] neg_hi:[1,1]
	v_pk_fma_f16 v16, 0xb846, v9, v16 op_sel_hi:[0,1,1] neg_lo:[0,1,0] neg_hi:[0,1,0]
	v_pk_fma_f16 v13, 0x2b26, v20, v13 op_sel_hi:[0,1,1]
	v_pk_fma_f16 v9, 0xb846, v9, v18 op_sel_hi:[0,1,1]
	v_pk_fma_f16 v15, 0x2b26, v20, v15 op_sel_hi:[0,1,1] neg_lo:[0,1,0] neg_hi:[0,1,0]
	v_pk_add_f16 v19, v19, v17 op_sel:[0,1] op_sel_hi:[1,0]
	v_pk_fma_f16 v10, 0x370e, v11, v10 op_sel_hi:[0,1,1]
	v_pk_add_f16 v13, v13, v17
	v_pk_fma_f16 v9, 0x370e, v11, v9 op_sel_hi:[0,1,1]
	v_pk_add_f16 v15, v15, v17
	v_pk_fma_f16 v16, 0x370e, v11, v16 op_sel_hi:[0,1,1]
	v_alignbit_b32 v27, v25, v52, 16
	v_alignbit_b32 v25, v52, v25, 16
	v_pk_add_f16 v44, v13, v9 op_sel:[0,1] op_sel_hi:[1,0]
	v_pk_add_f16 v9, v13, v9 op_sel:[0,1] op_sel_hi:[1,0] neg_lo:[0,1] neg_hi:[0,1]
	v_bfi_b32 v52, 0xffff, v14, v56
	v_bfi_b32 v14, 0xffff, v56, v14
	v_pk_add_f16 v69, v19, v10
	v_pk_add_f16 v42, v19, v10 neg_lo:[0,1] neg_hi:[0,1]
	v_pk_add_f16 v10, v15, v16 op_sel:[0,1] op_sel_hi:[1,0] neg_lo:[0,1] neg_hi:[0,1]
	v_pk_add_f16 v11, v15, v16 op_sel:[0,1] op_sel_hi:[1,0]
	v_bfi_b32 v15, 0xffff, v44, v9
	ds_store_2addr_b32 v116, v22, v14 offset1:1
	v_alignbit_b32 v13, v42, v69, 16
	v_bfi_b32 v16, 0xffff, v9, v44
	v_bfi_b32 v14, 0xffff, v10, v11
	;; [unrolled: 1-line block ×3, first 2 shown]
	v_alignbit_b32 v11, v69, v42, 16
	ds_store_2addr_b32 v116, v27, v48 offset0:2 offset1:3
	ds_store_2addr_b32 v116, v29, v25 offset0:4 offset1:5
	ds_store_b32 v116, v52 offset:24
	ds_store_2addr_b32 v115, v12, v15 offset1:1
	ds_store_2addr_b32 v115, v13, v14 offset0:2 offset1:3
	ds_store_2addr_b32 v115, v10, v11 offset0:4 offset1:5
	ds_store_b32 v115, v16 offset:24
	v_add_nc_u32_e32 v12, 0x600, v139
	global_wb scope:SCOPE_SE
	s_wait_dscnt 0x0
	s_barrier_signal -1
	s_barrier_wait -1
	global_inv scope:SCOPE_SE
	ds_load_2addr_b32 v[30:31], v139 offset1:55
	ds_load_2addr_b32 v[10:11], v139 offset0:110 offset1:175
	ds_load_2addr_b32 v[40:41], v7 offset0:94 offset1:149
	;; [unrolled: 1-line block ×4, first 2 shown]
	v_add_nc_u32_e32 v7, 0x1600, v139
	ds_load_2addr_b32 v[22:23], v1 offset0:42 offset1:107
	ds_load_2addr_b32 v[38:39], v6 offset0:26 offset1:81
	;; [unrolled: 1-line block ×9, first 2 shown]
	ds_load_2addr_b32 v[18:19], v5 offset1:55
	ds_load_2addr_b32 v[12:13], v2 offset0:94 offset1:149
	ds_load_b32 v75, v139 offset:7440
	v_lshrrev_b32_e32 v8, 16, v42
	v_lshrrev_b32_e32 v48, 16, v44
                                        ; kill: def $vgpr0 killed $sgpr0 killed $exec
                                        ; implicit-def: $vgpr42
                                        ; implicit-def: $vgpr50
                                        ; implicit-def: $vgpr51
                                        ; implicit-def: $vgpr44
                                        ; implicit-def: $vgpr52
                                        ; implicit-def: $vgpr53
                                        ; implicit-def: $vgpr49
                                        ; implicit-def: $vgpr54
                                        ; implicit-def: $vgpr47
                                        ; implicit-def: $vgpr55
                                        ; implicit-def: $vgpr57
                                        ; implicit-def: $vgpr1
                                        ; implicit-def: $vgpr56
                                        ; implicit-def: $vgpr58
	s_and_saveexec_b32 s0, vcc_lo
	s_cbranch_execz .LBB0_3
; %bb.2:
	ds_load_2addr_b32 v[8:9], v43 offset0:37 offset1:212
	ds_load_2addr_b32 v[0:1], v4 offset0:3 offset1:178
	v_add_nc_u32_e32 v4, 0xd00, v139
	ds_load_2addr_b32 v[42:43], v3 offset0:63 offset1:238
	ds_load_2addr_b32 v[44:45], v2 offset0:29 offset1:204
	;; [unrolled: 1-line block ×3, first 2 shown]
	ds_load_b32 v49, v139 offset:7660
	s_wait_dscnt 0x5
	v_lshrrev_b32_e32 v69, 16, v8
	v_lshrrev_b32_e32 v48, 16, v9
	s_wait_dscnt 0x4
	v_lshrrev_b32_e32 v58, 16, v0
	v_lshrrev_b32_e32 v56, 16, v1
	;; [unrolled: 3-line block ×5, first 2 shown]
	s_wait_dscnt 0x0
	v_lshrrev_b32_e32 v54, 16, v49
.LBB0_3:
	s_wait_alu 0xfffe
	s_or_b32 exec_lo, exec_lo, s0
	v_and_b32_e32 v73, 0xff, v71
	v_and_b32_e32 v74, 0xff, v70
	s_wait_dscnt 0x10
	v_lshrrev_b32_e32 v147, 16, v30
	s_delay_alu instid0(VALU_DEP_3) | instskip(NEXT) | instid1(VALU_DEP_1)
	v_mul_lo_u16 v2, v73, 37
	v_lshrrev_b16 v2, 8, v2
	s_delay_alu instid0(VALU_DEP_1) | instskip(NEXT) | instid1(VALU_DEP_1)
	v_sub_nc_u16 v3, v71, v2
	v_lshrrev_b16 v3, 1, v3
	s_delay_alu instid0(VALU_DEP_1) | instskip(NEXT) | instid1(VALU_DEP_1)
	v_and_b32_e32 v3, 0x7f, v3
	v_add_nc_u16 v2, v3, v2
	v_mul_lo_u16 v3, v74, 37
	s_delay_alu instid0(VALU_DEP_2) | instskip(NEXT) | instid1(VALU_DEP_2)
	v_lshrrev_b16 v128, 2, v2
	v_lshrrev_b16 v3, 8, v3
	s_delay_alu instid0(VALU_DEP_2) | instskip(NEXT) | instid1(VALU_DEP_2)
	v_mul_lo_u16 v2, v128, 7
	v_sub_nc_u16 v4, v70, v3
	s_delay_alu instid0(VALU_DEP_2) | instskip(NEXT) | instid1(VALU_DEP_2)
	v_sub_nc_u16 v2, v71, v2
	v_lshrrev_b16 v4, 1, v4
	s_delay_alu instid0(VALU_DEP_2) | instskip(NEXT) | instid1(VALU_DEP_2)
	v_and_b32_e32 v129, 0xff, v2
	v_and_b32_e32 v4, 0x7f, v4
	s_delay_alu instid0(VALU_DEP_2) | instskip(NEXT) | instid1(VALU_DEP_2)
	v_mul_u32_u24_e32 v2, 10, v129
	v_add_nc_u16 v3, v4, v3
	s_delay_alu instid0(VALU_DEP_2) | instskip(NEXT) | instid1(VALU_DEP_2)
	v_lshlrev_b32_e32 v132, 2, v2
	v_lshrrev_b16 v3, 2, v3
	scratch_store_b32 off, v3, off offset:164 ; 4-byte Folded Spill
	v_mul_lo_u16 v3, v3, 7
	s_delay_alu instid0(VALU_DEP_1) | instskip(NEXT) | instid1(VALU_DEP_1)
	v_sub_nc_u16 v3, v70, v3
	v_and_b32_e32 v3, 0xff, v3
	s_delay_alu instid0(VALU_DEP_1)
	v_mul_u32_u24_e32 v2, 10, v3
	scratch_store_b32 off, v3, off offset:160 ; 4-byte Folded Spill
	v_lshlrev_b32_e32 v2, 2, v2
	s_clause 0x1
	global_load_b64 v[99:100], v132, s[10:11] offset:32
	global_load_b128 v[4:7], v2, s[10:11]
	s_wait_loadcnt 0x1
	v_lshrrev_b32_e32 v241, 16, v99
	s_wait_loadcnt 0x0
	v_lshrrev_b32_e32 v60, 16, v5
	v_lshrrev_b32_e32 v59, 16, v6
	;; [unrolled: 1-line block ×3, first 2 shown]
	s_delay_alu instid0(VALU_DEP_3) | instskip(SKIP_1) | instid1(VALU_DEP_4)
	v_mul_f16_e32 v3, v58, v60
	v_mul_f16_e32 v110, v0, v60
	;; [unrolled: 1-line block ×3, first 2 shown]
	s_delay_alu instid0(VALU_DEP_4) | instskip(NEXT) | instid1(VALU_DEP_4)
	v_mul_f16_e32 v111, v46, v61
	v_fma_f16 v87, v0, v5, -v3
	v_mul_f16_e32 v3, v56, v59
	v_mul_f16_e32 v0, v57, v61
	v_fmac_f16_e32 v110, v58, v5
	v_fmac_f16_e32 v84, v56, v6
	;; [unrolled: 1-line block ×3, first 2 shown]
	v_fma_f16 v80, v1, v6, -v3
	v_fma_f16 v81, v46, v7, -v0
	s_clause 0x1
	global_load_b64 v[89:90], v2, s[10:11] offset:32
	global_load_b128 v[0:3], v2, s[10:11] offset:16
	s_wait_dscnt 0x6
	v_lshrrev_b32_e32 v58, 16, v32
	s_wait_loadcnt 0x0
	v_lshrrev_b32_e32 v60, 16, v0
	s_delay_alu instid0(VALU_DEP_1) | instskip(SKIP_2) | instid1(VALU_DEP_3)
	v_mul_f16_e32 v59, v55, v60
	v_mul_f16_e32 v85, v47, v60
	v_lshrrev_b32_e32 v60, 16, v34
	v_fma_f16 v82, v47, v0, -v59
	v_lshrrev_b32_e32 v47, 16, v1
	v_lshrrev_b32_e32 v59, 16, v2
	v_fmac_f16_e32 v85, v55, v0
	s_delay_alu instid0(VALU_DEP_3) | instskip(NEXT) | instid1(VALU_DEP_3)
	v_mul_f16_e32 v46, v50, v47
	v_mul_f16_e32 v79, v43, v59
	v_mul_f16_e32 v109, v42, v47
	s_delay_alu instid0(VALU_DEP_3) | instskip(SKIP_1) | instid1(VALU_DEP_3)
	v_fma_f16 v83, v42, v1, -v46
	v_mul_f16_e32 v46, v51, v59
	v_fmac_f16_e32 v109, v50, v1
	v_fmac_f16_e32 v79, v51, v2
	s_delay_alu instid0(VALU_DEP_4) | instskip(NEXT) | instid1(VALU_DEP_4)
	v_add_f16_e32 v119, v82, v83
	v_fma_f16 v77, v43, v2, -v46
	v_lshrrev_b32_e32 v43, 16, v3
	v_lshrrev_b32_e32 v46, 16, v89
	v_sub_f16_e32 v124, v111, v79
	v_sub_f16_e32 v123, v85, v109
	v_add_f16_e32 v113, v81, v77
	v_mul_f16_e32 v42, v52, v43
	v_mul_f16_e32 v86, v44, v43
	;; [unrolled: 1-line block ×3, first 2 shown]
	s_delay_alu instid0(VALU_DEP_3) | instskip(SKIP_1) | instid1(VALU_DEP_3)
	v_fma_f16 v78, v44, v3, -v42
	v_mul_f16_e32 v42, v53, v46
	v_fmac_f16_e32 v43, v53, v89
	v_fmac_f16_e32 v86, v52, v3
	s_delay_alu instid0(VALU_DEP_4) | instskip(NEXT) | instid1(VALU_DEP_4)
	v_add_f16_e32 v122, v80, v78
	v_fma_f16 v42, v45, v89, -v42
	v_lshrrev_b32_e32 v45, 16, v90
	v_sub_f16_e32 v127, v110, v43
	v_sub_f16_e32 v125, v84, v86
	s_delay_alu instid0(VALU_DEP_4) | instskip(NEXT) | instid1(VALU_DEP_4)
	v_add_f16_e32 v121, v87, v42
	v_mul_f16_e32 v44, v54, v45
	v_mul_f16_e32 v108, v49, v45
	;; [unrolled: 1-line block ×3, first 2 shown]
	s_delay_alu instid0(VALU_DEP_3) | instskip(SKIP_1) | instid1(VALU_DEP_4)
	v_fma_f16 v107, v49, v90, -v44
	v_lshrrev_b32_e32 v44, 16, v4
	v_fmac_f16_e32 v108, v54, v90
	s_delay_alu instid0(VALU_DEP_4) | instskip(SKIP_4) | instid1(VALU_DEP_4)
	v_fma_f16 v47, v121, 0xb93d, -v46
	v_mul_f16_e32 v49, 0x3482, v127
	v_fmac_f16_e32 v46, 0xb93d, v121
	v_mul_f16_e32 v112, v9, v44
	v_mul_f16_e32 v44, v48, v44
	v_fma_f16 v50, v121, 0xbbad, -v49
	v_fmac_f16_e32 v49, 0xbbad, v121
	s_delay_alu instid0(VALU_DEP_4) | instskip(NEXT) | instid1(VALU_DEP_4)
	v_fmac_f16_e32 v112, v48, v4
	v_fma_f16 v9, v9, v4, -v44
	s_delay_alu instid0(VALU_DEP_2) | instskip(NEXT) | instid1(VALU_DEP_2)
	v_sub_f16_e32 v126, v112, v108
	v_add_f16_e32 v120, v9, v107
	s_delay_alu instid0(VALU_DEP_2) | instskip(NEXT) | instid1(VALU_DEP_1)
	v_mul_f16_e32 v44, 0xbb47, v126
	v_fma_f16 v45, v120, 0x36a6, -v44
	v_fmac_f16_e32 v44, 0x36a6, v120
	s_delay_alu instid0(VALU_DEP_2) | instskip(NEXT) | instid1(VALU_DEP_2)
	v_add_f16_e32 v45, v8, v45
	v_add_f16_e32 v44, v8, v44
	s_delay_alu instid0(VALU_DEP_2) | instskip(SKIP_1) | instid1(VALU_DEP_3)
	v_add_f16_e32 v45, v47, v45
	v_mul_f16_e32 v47, 0xbbeb, v126
	v_add_f16_e32 v44, v46, v44
	s_delay_alu instid0(VALU_DEP_2) | instskip(SKIP_1) | instid1(VALU_DEP_2)
	v_fma_f16 v48, v120, 0xb08e, -v47
	v_fmac_f16_e32 v47, 0xb08e, v120
	v_add_f16_e32 v48, v8, v48
	s_delay_alu instid0(VALU_DEP_2) | instskip(NEXT) | instid1(VALU_DEP_2)
	v_add_f16_e32 v46, v8, v47
	v_add_f16_e32 v48, v50, v48
	v_mul_f16_e32 v50, 0x3482, v125
	s_delay_alu instid0(VALU_DEP_3) | instskip(SKIP_1) | instid1(VALU_DEP_3)
	v_add_f16_e32 v46, v49, v46
	v_mul_f16_e32 v49, 0x3853, v127
	v_fma_f16 v51, v122, 0xbbad, -v50
	v_fmac_f16_e32 v50, 0xbbad, v122
	s_delay_alu instid0(VALU_DEP_2) | instskip(SKIP_1) | instid1(VALU_DEP_3)
	v_add_f16_e32 v45, v51, v45
	v_mul_f16_e32 v51, 0x3b47, v125
	v_add_f16_e32 v44, v50, v44
	v_fma_f16 v50, v121, 0x3abb, -v49
	v_fmac_f16_e32 v49, 0x3abb, v121
	s_delay_alu instid0(VALU_DEP_4) | instskip(SKIP_1) | instid1(VALU_DEP_2)
	v_fma_f16 v52, v122, 0x36a6, -v51
	v_fmac_f16_e32 v51, 0x36a6, v122
	v_add_f16_e32 v48, v52, v48
	v_mul_f16_e32 v52, 0x3beb, v124
	s_delay_alu instid0(VALU_DEP_3) | instskip(NEXT) | instid1(VALU_DEP_2)
	v_add_f16_e32 v46, v51, v46
	v_fma_f16 v53, v113, 0xb08e, -v52
	v_fmac_f16_e32 v52, 0xb08e, v113
	s_delay_alu instid0(VALU_DEP_2) | instskip(SKIP_1) | instid1(VALU_DEP_3)
	v_add_f16_e32 v45, v53, v45
	v_mul_f16_e32 v53, 0xb853, v124
	v_add_f16_e32 v44, v52, v44
	s_delay_alu instid0(VALU_DEP_2) | instskip(SKIP_1) | instid1(VALU_DEP_2)
	v_fma_f16 v54, v113, 0x3abb, -v53
	v_fmac_f16_e32 v53, 0x3abb, v113
	v_add_f16_e32 v48, v54, v48
	v_mul_f16_e32 v54, 0x3853, v123
	s_delay_alu instid0(VALU_DEP_3) | instskip(NEXT) | instid1(VALU_DEP_2)
	v_add_f16_e32 v46, v53, v46
	v_fma_f16 v55, v119, 0x3abb, -v54
	v_fmac_f16_e32 v54, 0x3abb, v119
	s_delay_alu instid0(VALU_DEP_2) | instskip(SKIP_1) | instid1(VALU_DEP_3)
	v_add_f16_e32 v93, v55, v45
	v_mul_f16_e32 v45, 0xba0c, v123
	v_add_f16_e32 v98, v54, v44
	v_mul_f16_e32 v44, 0xba0c, v126
	s_delay_alu instid0(VALU_DEP_3) | instskip(SKIP_1) | instid1(VALU_DEP_2)
	v_fma_f16 v55, v119, 0xb93d, -v45
	v_fmac_f16_e32 v45, 0xb93d, v119
	v_add_f16_e32 v94, v55, v48
	s_delay_alu instid0(VALU_DEP_2) | instskip(SKIP_3) | instid1(VALU_DEP_3)
	v_add_f16_e32 v97, v45, v46
	v_fma_f16 v45, v120, 0xb93d, -v44
	v_mul_f16_e32 v46, 0x3beb, v127
	v_fmac_f16_e32 v44, 0xb93d, v120
	v_add_f16_e32 v45, v8, v45
	s_delay_alu instid0(VALU_DEP_3) | instskip(SKIP_1) | instid1(VALU_DEP_4)
	v_fma_f16 v47, v121, 0xb08e, -v46
	v_fmac_f16_e32 v46, 0xb08e, v121
	v_add_f16_e32 v44, v8, v44
	s_delay_alu instid0(VALU_DEP_3) | instskip(SKIP_1) | instid1(VALU_DEP_3)
	v_add_f16_e32 v45, v47, v45
	v_mul_f16_e32 v47, 0xb482, v126
	v_add_f16_e32 v44, v46, v44
	s_delay_alu instid0(VALU_DEP_2) | instskip(SKIP_1) | instid1(VALU_DEP_2)
	v_fma_f16 v48, v120, 0xbbad, -v47
	v_fmac_f16_e32 v47, 0xbbad, v120
	v_add_f16_e32 v48, v8, v48
	s_delay_alu instid0(VALU_DEP_2) | instskip(NEXT) | instid1(VALU_DEP_2)
	v_add_f16_e32 v46, v8, v47
	v_add_f16_e32 v48, v50, v48
	v_mul_f16_e32 v50, 0xb853, v125
	s_delay_alu instid0(VALU_DEP_3) | instskip(NEXT) | instid1(VALU_DEP_2)
	v_add_f16_e32 v46, v49, v46
	v_fma_f16 v51, v122, 0x3abb, -v50
	v_fmac_f16_e32 v50, 0x3abb, v122
	s_delay_alu instid0(VALU_DEP_2) | instskip(SKIP_1) | instid1(VALU_DEP_3)
	v_add_f16_e32 v45, v51, v45
	v_mul_f16_e32 v51, 0xba0c, v125
	v_add_f16_e32 v44, v50, v44
	s_delay_alu instid0(VALU_DEP_2) | instskip(SKIP_1) | instid1(VALU_DEP_2)
	v_fma_f16 v52, v122, 0xb93d, -v51
	v_fmac_f16_e32 v51, 0xb93d, v122
	v_add_f16_e32 v48, v52, v48
	v_mul_f16_e32 v52, 0xb482, v124
	s_delay_alu instid0(VALU_DEP_3) | instskip(NEXT) | instid1(VALU_DEP_2)
	v_add_f16_e32 v46, v51, v46
	v_fma_f16 v53, v113, 0xbbad, -v52
	v_fmac_f16_e32 v52, 0xbbad, v113
	s_delay_alu instid0(VALU_DEP_2) | instskip(SKIP_1) | instid1(VALU_DEP_3)
	v_add_f16_e32 v45, v53, v45
	v_mul_f16_e32 v53, 0x3b47, v124
	v_add_f16_e32 v44, v52, v44
	v_lshrrev_b32_e32 v52, 16, v11
	s_delay_alu instid0(VALU_DEP_3) | instskip(SKIP_1) | instid1(VALU_DEP_2)
	v_fma_f16 v54, v113, 0x36a6, -v53
	v_fmac_f16_e32 v53, 0x36a6, v113
	v_add_f16_e32 v48, v54, v48
	v_mul_f16_e32 v54, 0x3b47, v123
	s_delay_alu instid0(VALU_DEP_3) | instskip(NEXT) | instid1(VALU_DEP_2)
	v_add_f16_e32 v46, v53, v46
	v_fma_f16 v55, v119, 0x36a6, -v54
	v_fmac_f16_e32 v54, 0x36a6, v119
	s_delay_alu instid0(VALU_DEP_2) | instskip(NEXT) | instid1(VALU_DEP_2)
	v_add_f16_e32 v91, v55, v45
	v_add_f16_e32 v96, v54, v44
	v_and_b32_e32 v44, 0xff, v198
	v_mul_f16_e32 v45, 0xbbeb, v123
	s_delay_alu instid0(VALU_DEP_2) | instskip(NEXT) | instid1(VALU_DEP_2)
	v_mul_lo_u16 v44, v44, 37
	v_fma_f16 v55, v119, 0xb08e, -v45
	v_fmac_f16_e32 v45, 0xb08e, v119
	s_delay_alu instid0(VALU_DEP_3) | instskip(NEXT) | instid1(VALU_DEP_3)
	v_lshrrev_b16 v44, 8, v44
	v_add_f16_e32 v92, v55, v48
	s_delay_alu instid0(VALU_DEP_3) | instskip(NEXT) | instid1(VALU_DEP_3)
	v_add_f16_e32 v95, v45, v46
	v_sub_nc_u16 v45, v198, v44
	s_delay_alu instid0(VALU_DEP_1) | instskip(NEXT) | instid1(VALU_DEP_1)
	v_lshrrev_b16 v45, 1, v45
	v_and_b32_e32 v45, 0x7f, v45
	s_delay_alu instid0(VALU_DEP_1) | instskip(SKIP_1) | instid1(VALU_DEP_2)
	v_add_nc_u16 v44, v45, v44
	v_and_b32_e32 v45, 0xff, v72
	v_lshrrev_b16 v48, 2, v44
	s_delay_alu instid0(VALU_DEP_2) | instskip(NEXT) | instid1(VALU_DEP_2)
	v_mul_lo_u16 v45, v45, 37
	v_mul_lo_u16 v44, v48, 7
	s_delay_alu instid0(VALU_DEP_2) | instskip(SKIP_1) | instid1(VALU_DEP_3)
	v_lshrrev_b16 v45, 8, v45
	v_and_b32_e32 v48, 0xffff, v48
	v_sub_nc_u16 v44, v198, v44
	s_delay_alu instid0(VALU_DEP_3) | instskip(NEXT) | instid1(VALU_DEP_3)
	v_sub_nc_u16 v46, v72, v45
	v_mul_u32_u24_e32 v48, 0x4d, v48
	s_delay_alu instid0(VALU_DEP_3) | instskip(NEXT) | instid1(VALU_DEP_3)
	v_and_b32_e32 v49, 0xff, v44
	v_lshrrev_b16 v46, 1, v46
	s_delay_alu instid0(VALU_DEP_2) | instskip(NEXT) | instid1(VALU_DEP_2)
	v_mul_u32_u24_e32 v44, 10, v49
	v_and_b32_e32 v46, 0x7f, v46
	v_add_lshl_u32 v224, v48, v49, 2
	s_delay_alu instid0(VALU_DEP_3) | instskip(NEXT) | instid1(VALU_DEP_3)
	v_lshlrev_b32_e32 v50, 2, v44
	v_add_nc_u16 v45, v46, v45
	s_delay_alu instid0(VALU_DEP_1) | instskip(NEXT) | instid1(VALU_DEP_1)
	v_lshrrev_b16 v130, 2, v45
	v_mul_lo_u16 v45, v130, 7
	v_and_b32_e32 v130, 0xffff, v130
	s_delay_alu instid0(VALU_DEP_2) | instskip(NEXT) | instid1(VALU_DEP_2)
	v_sub_nc_u16 v45, v72, v45
	v_mul_u32_u24_e32 v130, 0x4d, v130
	s_delay_alu instid0(VALU_DEP_2) | instskip(NEXT) | instid1(VALU_DEP_1)
	v_and_b32_e32 v131, 0xff, v45
	v_mul_u32_u24_e32 v44, 10, v131
	s_delay_alu instid0(VALU_DEP_3) | instskip(NEXT) | instid1(VALU_DEP_2)
	v_add_lshl_u32 v223, v130, v131, 2
	v_lshlrev_b32_e32 v51, 2, v44
	s_clause 0x1
	global_load_b128 v[64:67], v50, s[10:11]
	global_load_b128 v[44:47], v50, s[10:11] offset:16
	s_wait_loadcnt 0x1
	v_lshrrev_b32_e32 v173, 16, v64
	v_lshrrev_b32_e32 v211, 16, v65
	;; [unrolled: 1-line block ×3, first 2 shown]
	s_wait_loadcnt 0x0
	v_lshrrev_b32_e32 v61, 16, v47
	v_lshrrev_b32_e32 v181, 16, v67
	v_mul_f16_e64 v133, v11, v173
	v_mul_f16_e64 v56, v52, v173
	;; [unrolled: 1-line block ×5, first 2 shown]
	v_fmac_f16_e64 v133, v52, v64
	v_lshrrev_b32_e32 v52, 16, v40
	v_fma_f16 v11, v11, v64, -v56
	v_mul_f16_e64 v169, v36, v181
	v_fmac_f16_e64 v158, v60, v47
	v_mul_f16_e32 v60, v60, v61
	v_fmac_f16_e64 v134, v52, v65
	v_mul_f16_e64 v57, v52, v211
	s_clause 0x1
	global_load_b64 v[101:102], v50, s[10:11] offset:32
	global_load_b128 v[52:55], v51, s[10:11]
	v_lshrrev_b32_e32 v50, 16, v15
	v_fma_f16 v34, v34, v47, -v60
	v_lshrrev_b32_e32 v61, 16, v46
	v_fma_f16 v40, v40, v65, -v57
	v_lshrrev_b32_e32 v60, 16, v17
	s_delay_alu instid0(VALU_DEP_3) | instskip(NEXT) | instid1(VALU_DEP_1)
	v_mul_f16_e64 v171, v17, v61
	v_fmac_f16_e64 v171, v60, v46
	v_mul_f16_e32 v60, v60, v61
	v_lshrrev_b32_e32 v61, 16, v45
	s_delay_alu instid0(VALU_DEP_2) | instskip(SKIP_1) | instid1(VALU_DEP_3)
	v_fma_f16 v17, v17, v46, -v60
	v_lshrrev_b32_e32 v60, 16, v44
	v_mul_f16_e64 v199, v38, v61
	s_delay_alu instid0(VALU_DEP_2) | instskip(SKIP_3) | instid1(VALU_DEP_2)
	v_mul_f16_e64 v195, v23, v60
	s_wait_loadcnt 0x1
	v_lshrrev_b32_e32 v175, 16, v102
	v_lshrrev_b32_e32 v174, 16, v101
	v_mul_f16_e64 v136, v32, v175
	s_delay_alu instid0(VALU_DEP_2) | instskip(NEXT) | instid1(VALU_DEP_2)
	v_mul_f16_e64 v135, v15, v174
	v_fmac_f16_e64 v136, v58, v102
	v_mul_f16_e64 v58, v58, v175
	s_delay_alu instid0(VALU_DEP_3) | instskip(SKIP_1) | instid1(VALU_DEP_4)
	v_fmac_f16_e64 v135, v50, v101
	v_mul_f16_e64 v50, v50, v174
	v_sub_f16_e64 v137, v133, v136
	s_delay_alu instid0(VALU_DEP_4) | instskip(NEXT) | instid1(VALU_DEP_4)
	v_fma_f16 v32, v32, v102, -v58
	v_sub_f16_e64 v141, v134, v135
	s_delay_alu instid0(VALU_DEP_4)
	v_fma_f16 v15, v15, v101, -v50
	v_add_f16_e64 v145, v133, v136
	v_mul_f16_e64 v140, 0xbb47, v137
	v_add_f16_e64 v138, v11, v32
	v_mul_f16_e64 v143, 0xba0c, v141
	v_add_f16_e64 v142, v40, v15
	v_sub_f16_e64 v144, v11, v32
	v_sub_f16_e64 v149, v40, v15
	v_fma_f16 v50, v138, 0x36a6, -v140
	v_add_f16_e64 v150, v134, v135
	v_fma_f16 v56, v142, 0xb93d, -v143
	v_mul_f16_e64 v146, 0xbb47, v144
	v_mul_f16_e64 v151, 0xba0c, v149
	v_add_f16_e32 v50, v30, v50
	v_mul_f16_e64 v152, 0xbbeb, v137
	v_mul_f16_e64 v153, 0x3482, v141
	;; [unrolled: 1-line block ×3, first 2 shown]
	v_fma_f16 v57, 0xb93d, v150, v151
	v_add_f16_e32 v50, v56, v50
	v_fma_f16 v56, 0x36a6, v145, v146
	v_fma_f16 v58, v142, 0xbbad, -v153
	v_mul_f16_e64 v155, 0x3482, v149
	v_add_f16_e32 v11, v30, v11
	v_fmac_f16_e64 v140, 0x36a6, v138
	v_add_f16_e64 v56, v147, v56
	v_fmac_f16_e64 v143, 0xb93d, v142
	v_fma_f16 v59, 0xbbad, v150, v155
	v_add_f16_e32 v11, v11, v40
	v_add_f16_e64 v40, v147, v133
	v_add_f16_e32 v56, v57, v56
	v_fma_f16 v57, v138, 0xb08e, -v152
	v_fmac_f16_e64 v152, 0xb08e, v138
	v_fmac_f16_e64 v153, 0xbbad, v142
	v_add_f16_e64 v40, v40, v134
	v_mul_f16_e64 v134, 0xbb47, v149
	v_add_f16_e32 v57, v30, v57
	s_delay_alu instid0(VALU_DEP_1) | instskip(SKIP_1) | instid1(VALU_DEP_1)
	v_add_f16_e32 v57, v58, v57
	v_fma_f16 v58, 0xb08e, v145, v154
	v_add_f16_e64 v58, v147, v58
	s_delay_alu instid0(VALU_DEP_1) | instskip(SKIP_1) | instid1(VALU_DEP_1)
	v_add_f16_e32 v58, v59, v58
	v_lshrrev_b32_e32 v59, 16, v25
	v_fmac_f16_e64 v156, v59, v66
	v_mul_f16_e64 v59, v59, v180
	s_delay_alu instid0(VALU_DEP_2) | instskip(NEXT) | instid1(VALU_DEP_2)
	v_sub_f16_e64 v159, v156, v158
	v_fma_f16 v25, v25, v66, -v59
	v_add_f16_e64 v163, v156, v158
	s_delay_alu instid0(VALU_DEP_3) | instskip(NEXT) | instid1(VALU_DEP_3)
	v_mul_f16_e64 v161, 0x3482, v159
	v_add_f16_e64 v160, v25, v34
	v_sub_f16_e64 v162, v25, v34
	v_mul_f16_e64 v166, 0x3b47, v159
	v_add_f16_e32 v11, v11, v25
	v_add_f16_e64 v25, v40, v156
	v_fma_f16 v59, v160, 0xbbad, -v161
	v_mul_f16_e64 v164, 0x3482, v162
	v_mul_f16_e64 v168, 0x3b47, v162
	;; [unrolled: 1-line block ×3, first 2 shown]
	v_fma_f16 v156, 0x36a6, v150, v134
	v_add_f16_e32 v50, v59, v50
	v_fma_f16 v59, 0xbbad, v163, v164
	v_fmac_f16_e64 v161, 0xbbad, v160
	s_delay_alu instid0(VALU_DEP_2) | instskip(SKIP_2) | instid1(VALU_DEP_2)
	v_add_f16_e32 v56, v59, v56
	v_fma_f16 v59, v160, 0x36a6, -v166
	v_fmac_f16_e64 v166, 0x36a6, v160
	v_add_f16_e32 v57, v59, v57
	v_fma_f16 v59, 0x36a6, v163, v168
	s_delay_alu instid0(VALU_DEP_1) | instskip(SKIP_1) | instid1(VALU_DEP_1)
	v_add_f16_e32 v58, v59, v58
	v_lshrrev_b32_e32 v59, 16, v36
	v_fmac_f16_e64 v169, v59, v67
	v_mul_f16_e64 v59, v59, v181
	s_delay_alu instid0(VALU_DEP_2) | instskip(NEXT) | instid1(VALU_DEP_2)
	v_sub_f16_e64 v176, v169, v171
	v_fma_f16 v36, v36, v67, -v59
	v_add_f16_e64 v187, v169, v171
	v_add_f16_e64 v25, v25, v169
	s_delay_alu instid0(VALU_DEP_4) | instskip(NEXT) | instid1(VALU_DEP_4)
	v_mul_f16_e64 v183, 0x3beb, v176
	v_add_f16_e64 v178, v36, v17
	v_sub_f16_e64 v185, v36, v17
	v_mul_f16_e64 v193, 0xb853, v176
	v_add_f16_e32 v11, v11, v36
	s_delay_alu instid0(VALU_DEP_4) | instskip(NEXT) | instid1(VALU_DEP_4)
	v_fma_f16 v59, v178, 0xb08e, -v183
	v_mul_f16_e64 v190, 0x3beb, v185
	v_mul_f16_e64 v194, 0xb853, v185
	v_fmac_f16_e64 v183, 0xb08e, v178
	s_delay_alu instid0(VALU_DEP_4) | instskip(NEXT) | instid1(VALU_DEP_4)
	v_add_f16_e32 v50, v59, v50
	v_fma_f16 v59, 0xb08e, v187, v190
	s_delay_alu instid0(VALU_DEP_1) | instskip(SKIP_2) | instid1(VALU_DEP_2)
	v_add_f16_e32 v56, v59, v56
	v_fma_f16 v59, v178, 0x3abb, -v193
	v_fmac_f16_e64 v193, 0x3abb, v178
	v_add_f16_e32 v57, v59, v57
	v_fma_f16 v59, 0x3abb, v187, v194
	s_delay_alu instid0(VALU_DEP_1) | instskip(SKIP_1) | instid1(VALU_DEP_1)
	v_add_f16_e32 v58, v59, v58
	v_lshrrev_b32_e32 v59, 16, v23
	v_fmac_f16_e64 v195, v59, v44
	v_mul_f16_e32 v59, v59, v60
	v_lshrrev_b32_e32 v60, 16, v38
	s_delay_alu instid0(VALU_DEP_2) | instskip(NEXT) | instid1(VALU_DEP_2)
	v_fma_f16 v23, v23, v44, -v59
	v_fmac_f16_e64 v199, v60, v45
	v_mul_f16_e32 v60, v60, v61
	s_delay_alu instid0(VALU_DEP_3) | instskip(NEXT) | instid1(VALU_DEP_3)
	v_add_f16_e32 v11, v11, v23
	v_sub_f16_e64 v201, v195, v199
	s_delay_alu instid0(VALU_DEP_3) | instskip(SKIP_1) | instid1(VALU_DEP_3)
	v_fma_f16 v38, v38, v45, -v60
	v_add_f16_e64 v208, v195, v199
	v_mul_f16_e64 v205, 0x3853, v201
	s_delay_alu instid0(VALU_DEP_3)
	v_add_f16_e64 v202, v23, v38
	v_sub_f16_e64 v207, v23, v38
	v_mul_f16_e64 v210, 0xba0c, v201
	v_add_f16_e64 v23, v25, v195
	v_mul_f16_e64 v25, 0xb853, v137
	v_fma_f16 v59, v202, 0x3abb, -v205
	v_mul_f16_e64 v209, 0x3853, v207
	v_mul_f16_e64 v212, 0xba0c, v207
	v_add_f16_e32 v11, v11, v38
	v_fma_f16 v36, v138, 0x3abb, -v25
	v_add_f16_e32 v50, v59, v50
	v_fma_f16 v59, 0x3abb, v208, v209
	v_mul_f16_e64 v38, 0xbbeb, v159
	v_add_f16_e64 v23, v23, v199
	v_add_f16_e32 v36, v30, v36
	v_add_f16_e32 v11, v11, v17
	;; [unrolled: 1-line block ×3, first 2 shown]
	v_fma_f16 v59, v202, 0xb93d, -v210
	v_add_f16_e64 v17, v23, v171
	v_mul_f16_e64 v23, 0xba0c, v176
	v_add_f16_e32 v11, v11, v34
	v_pack_b32_f16 v213, v50, v56
	v_add_f16_e32 v57, v59, v57
	v_fma_f16 v59, 0xb93d, v208, v212
	v_add_f16_e64 v17, v17, v158
	v_mul_f16_e64 v34, 0xb482, v201
	v_add_f16_e32 v11, v11, v15
	v_fmac_f16_e64 v205, 0x3abb, v202
	v_add_f16_e32 v58, v59, v58
	v_add_f16_e64 v15, v17, v135
	v_mul_f16_e64 v17, 0xb482, v207
	v_fma_f16 v158, v202, 0xbbad, -v34
	v_add_f16_e32 v11, v11, v32
	v_pack_b32_f16 v214, v57, v58
	s_clause 0x3
	global_load_b64 v[105:106], v51, s[10:11] offset:32
	global_load_b128 v[56:59], v51, s[10:11] offset:16
	global_load_b128 v[60:63], v132, s[10:11]
	global_load_b128 v[48:51], v132, s[10:11] offset:16
	v_fma_f16 v132, v142, 0x36a6, -v40
	v_fma_f16 v135, 0xbbad, v208, v17
	v_add_f16_e64 v15, v15, v136
	global_wb scope:SCOPE_SE
	s_wait_storecnt 0x0
	s_wait_loadcnt_dscnt 0x0
	s_barrier_signal -1
	v_add_f16_e64 v36, v132, v36
	v_mul_f16_e64 v132, 0xb853, v144
	v_pack_b32_f16 v11, v11, v15
	s_barrier_wait -1
	global_inv scope:SCOPE_SE
	ds_store_2addr_b32 v224, v213, v214 offset0:14 offset1:21
	v_fma_f16 v133, 0x3abb, v145, v132
	v_fmac_f16_e64 v210, 0xb93d, v202
	v_fmac_f16_e64 v25, 0x3abb, v138
	;; [unrolled: 1-line block ×4, first 2 shown]
	v_add_f16_e64 v133, v147, v133
	v_fma_f16 v17, v208, 0xbbad, -v17
	v_add_f16_e32 v25, v30, v25
	s_delay_alu instid0(VALU_DEP_3) | instskip(SKIP_1) | instid1(VALU_DEP_3)
	v_add_f16_e64 v133, v156, v133
	v_fma_f16 v156, v160, 0xb08e, -v38
	v_add_f16_e32 v25, v40, v25
	v_fmac_f16_e64 v38, 0xb08e, v160
	s_delay_alu instid0(VALU_DEP_3) | instskip(SKIP_1) | instid1(VALU_DEP_3)
	v_add_f16_e64 v36, v156, v36
	v_mul_f16_e64 v156, 0xbbeb, v162
	v_add_f16_e32 v25, v38, v25
	s_delay_alu instid0(VALU_DEP_2) | instskip(NEXT) | instid1(VALU_DEP_1)
	v_fma_f16 v169, 0xb08e, v163, v156
	v_add_f16_e64 v133, v169, v133
	v_fma_f16 v169, v178, 0xb93d, -v23
	v_fmac_f16_e64 v23, 0xb93d, v178
	s_delay_alu instid0(VALU_DEP_2) | instskip(SKIP_1) | instid1(VALU_DEP_2)
	v_add_f16_e64 v36, v169, v36
	v_mul_f16_e64 v169, 0xba0c, v185
	v_add_f16_e64 v36, v158, v36
	s_delay_alu instid0(VALU_DEP_2) | instskip(NEXT) | instid1(VALU_DEP_1)
	v_fma_f16 v171, 0xb93d, v187, v169
	v_add_f16_e64 v133, v171, v133
	s_delay_alu instid0(VALU_DEP_1) | instskip(SKIP_2) | instid1(VALU_DEP_3)
	v_add_f16_e64 v133, v135, v133
	v_mul_f16_e64 v135, 0x3beb, v149
	v_mul_f16_e64 v149, 0x3853, v149
	v_pack_b32_f16 v32, v36, v133
	s_delay_alu instid0(VALU_DEP_3) | instskip(NEXT) | instid1(VALU_DEP_3)
	v_fma_f16 v136, 0xb08e, v150, v135
	v_fma_f16 v171, 0x3abb, v150, v149
	ds_store_2addr_b32 v224, v11, v32 offset1:7
	v_mul_f16_e64 v11, 0xba0c, v137
	v_mul_f16_e64 v32, 0x3beb, v141
	s_delay_alu instid0(VALU_DEP_2) | instskip(NEXT) | instid1(VALU_DEP_2)
	v_fma_f16 v15, v138, 0xb93d, -v11
	v_fma_f16 v36, v142, 0xb08e, -v32
	v_fmac_f16_e64 v11, 0xb93d, v138
	v_fmac_f16_e64 v32, 0xb08e, v142
	s_delay_alu instid0(VALU_DEP_4) | instskip(NEXT) | instid1(VALU_DEP_3)
	v_add_f16_e32 v15, v30, v15
	v_add_f16_e32 v11, v30, v11
	s_delay_alu instid0(VALU_DEP_2) | instskip(SKIP_2) | instid1(VALU_DEP_4)
	v_add_f16_e32 v15, v36, v15
	v_mul_f16_e64 v36, 0xba0c, v144
	v_mul_f16_e64 v144, 0xb482, v144
	v_add_f16_e32 v11, v32, v11
	v_fma_f16 v32, v150, 0xb08e, -v135
	s_delay_alu instid0(VALU_DEP_4) | instskip(NEXT) | instid1(VALU_DEP_1)
	v_fma_f16 v133, 0xb93d, v145, v36
	v_add_f16_e64 v133, v147, v133
	s_delay_alu instid0(VALU_DEP_1) | instskip(SKIP_2) | instid1(VALU_DEP_2)
	v_add_f16_e64 v133, v136, v133
	v_mul_f16_e64 v136, 0xb482, v137
	v_mul_f16_e64 v137, 0x3853, v141
	v_fma_f16 v141, v138, 0xbbad, -v136
	s_delay_alu instid0(VALU_DEP_2) | instskip(SKIP_2) | instid1(VALU_DEP_4)
	v_fma_f16 v158, v142, 0x3abb, -v137
	v_fmac_f16_e64 v136, 0xbbad, v138
	v_fmac_f16_e64 v137, 0x3abb, v142
	v_add_f16_e64 v141, v30, v141
	s_delay_alu instid0(VALU_DEP_1) | instskip(SKIP_1) | instid1(VALU_DEP_1)
	v_add_f16_e64 v141, v158, v141
	v_fma_f16 v158, 0xbbad, v145, v144
	v_add_f16_e64 v158, v147, v158
	s_delay_alu instid0(VALU_DEP_1) | instskip(SKIP_2) | instid1(VALU_DEP_2)
	v_add_f16_e64 v158, v171, v158
	v_mul_f16_e64 v171, 0xb853, v159
	v_mul_f16_e64 v159, 0xba0c, v159
	v_fma_f16 v195, v160, 0x3abb, -v171
	v_fmac_f16_e64 v171, 0x3abb, v160
	s_delay_alu instid0(VALU_DEP_2) | instskip(SKIP_2) | instid1(VALU_DEP_4)
	v_add_f16_e64 v15, v195, v15
	v_mul_f16_e64 v195, 0xb853, v162
	v_mul_f16_e64 v162, 0xba0c, v162
	v_add_f16_e64 v11, v171, v11
	s_delay_alu instid0(VALU_DEP_3) | instskip(NEXT) | instid1(VALU_DEP_1)
	v_fma_f16 v199, 0x3abb, v163, v195
	v_add_f16_e64 v133, v199, v133
	v_fma_f16 v199, v160, 0xb93d, -v159
	v_fmac_f16_e64 v159, 0xb93d, v160
	s_delay_alu instid0(VALU_DEP_2) | instskip(SKIP_1) | instid1(VALU_DEP_1)
	v_add_f16_e64 v141, v199, v141
	v_fma_f16 v199, 0xb93d, v163, v162
	v_add_f16_e64 v158, v199, v158
	v_mul_f16_e64 v199, 0xb482, v176
	v_mul_f16_e64 v176, 0x3b47, v176
	s_delay_alu instid0(VALU_DEP_2) | instskip(SKIP_1) | instid1(VALU_DEP_2)
	v_fma_f16 v213, v178, 0xbbad, -v199
	v_fmac_f16_e64 v199, 0xbbad, v178
	v_add_f16_e64 v15, v213, v15
	v_mul_f16_e64 v213, 0xb482, v185
	v_mul_f16_e64 v185, 0x3b47, v185
	s_delay_alu instid0(VALU_DEP_4) | instskip(NEXT) | instid1(VALU_DEP_3)
	v_add_f16_e64 v11, v199, v11
	v_fma_f16 v214, 0xbbad, v187, v213
	s_delay_alu instid0(VALU_DEP_1) | instskip(SKIP_2) | instid1(VALU_DEP_2)
	v_add_f16_e64 v133, v214, v133
	v_fma_f16 v214, v178, 0x36a6, -v176
	v_fmac_f16_e64 v176, 0x36a6, v178
	v_add_f16_e64 v141, v214, v141
	v_fma_f16 v214, 0x36a6, v187, v185
	s_delay_alu instid0(VALU_DEP_1) | instskip(SKIP_2) | instid1(VALU_DEP_2)
	v_add_f16_e64 v158, v214, v158
	v_mul_f16_e64 v214, 0x3b47, v201
	v_mul_f16_e64 v201, 0xbbeb, v201
	v_fma_f16 v215, v202, 0x36a6, -v214
	v_fmac_f16_e64 v214, 0x36a6, v202
	s_delay_alu instid0(VALU_DEP_2) | instskip(SKIP_2) | instid1(VALU_DEP_4)
	v_add_f16_e64 v15, v215, v15
	v_mul_f16_e64 v215, 0x3b47, v207
	v_mul_f16_e64 v207, 0xbbeb, v207
	v_add_f16_e64 v11, v214, v11
	v_lshrrev_b32_e32 v214, 16, v52
	s_delay_alu instid0(VALU_DEP_4) | instskip(NEXT) | instid1(VALU_DEP_1)
	v_fma_f16 v216, 0x36a6, v208, v215
	v_add_f16_e64 v133, v216, v133
	v_fma_f16 v216, v202, 0xb08e, -v201
	v_fmac_f16_e64 v201, 0xb08e, v202
	s_delay_alu instid0(VALU_DEP_3) | instskip(NEXT) | instid1(VALU_DEP_3)
	v_pack_b32_f16 v15, v15, v133
	v_add_f16_e64 v141, v216, v141
	v_fma_f16 v216, 0xb08e, v208, v207
	s_delay_alu instid0(VALU_DEP_1) | instskip(NEXT) | instid1(VALU_DEP_1)
	v_add_f16_e64 v158, v216, v158
	v_pack_b32_f16 v133, v141, v158
	ds_store_2addr_b32 v224, v15, v133 offset0:28 offset1:35
	v_fma_f16 v15, v145, 0xb93d, -v36
	v_fma_f16 v36, v145, 0xbbad, -v144
	;; [unrolled: 1-line block ×3, first 2 shown]
	s_delay_alu instid0(VALU_DEP_3) | instskip(NEXT) | instid1(VALU_DEP_3)
	v_add_f16_e64 v15, v147, v15
	v_add_f16_e64 v36, v147, v36
	s_delay_alu instid0(VALU_DEP_2) | instskip(NEXT) | instid1(VALU_DEP_2)
	v_add_f16_e32 v15, v32, v15
	v_add_f16_e64 v36, v133, v36
	v_fma_f16 v133, v163, 0x3abb, -v195
	v_add_f16_e64 v32, v30, v136
	s_delay_alu instid0(VALU_DEP_2) | instskip(SKIP_1) | instid1(VALU_DEP_3)
	v_add_f16_e64 v15, v133, v15
	v_fma_f16 v133, v163, 0xb93d, -v162
	v_add_f16_e64 v32, v137, v32
	s_delay_alu instid0(VALU_DEP_2) | instskip(SKIP_1) | instid1(VALU_DEP_3)
	v_add_f16_e64 v36, v133, v36
	v_fma_f16 v133, v187, 0xbbad, -v213
	v_add_f16_e64 v32, v159, v32
	v_lshrrev_b32_e32 v213, 16, v53
	s_delay_alu instid0(VALU_DEP_3) | instskip(SKIP_1) | instid1(VALU_DEP_4)
	v_add_f16_e64 v15, v133, v15
	v_fma_f16 v133, v187, 0x36a6, -v185
	v_add_f16_e64 v32, v176, v32
	s_delay_alu instid0(VALU_DEP_2) | instskip(SKIP_1) | instid1(VALU_DEP_3)
	v_add_f16_e64 v36, v133, v36
	v_fma_f16 v133, v208, 0xb08e, -v207
	v_add_f16_e64 v32, v201, v32
	s_delay_alu instid0(VALU_DEP_2) | instskip(SKIP_2) | instid1(VALU_DEP_3)
	v_add_f16_e64 v36, v133, v36
	v_fma_f16 v133, v208, 0x36a6, -v215
	v_lshrrev_b32_e32 v215, 16, v54
	v_pack_b32_f16 v32, v32, v36
	s_delay_alu instid0(VALU_DEP_3) | instskip(SKIP_2) | instid1(VALU_DEP_3)
	v_add_f16_e64 v15, v133, v15
	v_fma_f16 v36, v145, 0xb08e, -v154
	v_fma_f16 v133, v150, 0xbbad, -v155
	v_pack_b32_f16 v11, v11, v15
	v_fma_f16 v15, v145, 0x36a6, -v146
	s_delay_alu instid0(VALU_DEP_4)
	v_add_f16_e64 v36, v147, v36
	ds_store_2addr_b32 v224, v32, v11 offset0:42 offset1:49
	v_add_f16_e64 v15, v147, v15
	v_fma_f16 v32, v150, 0xb93d, -v151
	v_add_f16_e64 v36, v133, v36
	v_fma_f16 v133, v163, 0xbbad, -v164
	v_add_f16_e64 v11, v30, v140
	s_delay_alu instid0(VALU_DEP_4) | instskip(SKIP_1) | instid1(VALU_DEP_3)
	v_add_f16_e32 v15, v32, v15
	v_add_f16_e64 v32, v30, v152
	v_add_f16_e64 v11, v143, v11
	s_delay_alu instid0(VALU_DEP_3) | instskip(SKIP_1) | instid1(VALU_DEP_4)
	v_add_f16_e64 v15, v133, v15
	v_fma_f16 v133, v163, 0x36a6, -v168
	v_add_f16_e64 v32, v153, v32
	s_delay_alu instid0(VALU_DEP_4) | instskip(SKIP_1) | instid1(VALU_DEP_4)
	v_add_f16_e64 v11, v161, v11
	v_lshrrev_b32_e32 v201, 16, v106
	v_add_f16_e64 v36, v133, v36
	v_fma_f16 v133, v187, 0xb08e, -v190
	v_add_f16_e64 v32, v166, v32
	v_add_f16_e64 v11, v183, v11
	v_lshrrev_b32_e32 v207, 16, v59
	v_lshrrev_b32_e32 v202, 16, v105
	v_add_f16_e64 v15, v133, v15
	v_fma_f16 v133, v187, 0x3abb, -v194
	v_add_f16_e64 v32, v193, v32
	v_add_f16_e64 v11, v205, v11
	v_lshrrev_b32_e32 v205, 16, v57
	v_mul_f16_e64 v137, v35, v207
	v_add_f16_e64 v36, v133, v36
	v_fma_f16 v133, v208, 0xb93d, -v212
	v_add_f16_e64 v32, v210, v32
	v_lshrrev_b32_e32 v210, 16, v55
	v_mul_f16_e64 v136, v39, v205
	v_lshrrev_b32_e32 v250, 16, v60
	v_add_f16_e64 v36, v133, v36
	v_fma_f16 v133, v208, 0x3abb, -v209
	v_mul_f16_e64 v135, v37, v210
	v_lshrrev_b32_e32 v208, 16, v56
	v_lshrrev_b32_e32 v209, 16, v58
	v_pack_b32_f16 v32, v32, v36
	v_add_f16_e64 v15, v133, v15
	v_mul_f16_e64 v36, v41, v213
	v_lshrrev_b32_e32 v249, 16, v61
	v_lshrrev_b32_e32 v248, 16, v62
	;; [unrolled: 1-line block ×3, first 2 shown]
	v_pack_b32_f16 v11, v11, v15
	v_lshrrev_b32_e32 v243, 16, v49
	ds_store_2addr_b32 v224, v32, v11 offset0:56 offset1:63
	v_lshrrev_b32_e32 v11, 16, v41
	s_delay_alu instid0(VALU_DEP_1) | instskip(SKIP_2) | instid1(VALU_DEP_3)
	v_mul_f16_e64 v15, v11, v213
	v_fmac_f16_e32 v36, v11, v53
	v_add_f16_e32 v11, v23, v25
	v_fma_f16 v32, v41, v53, -v15
	v_lshrrev_b32_e32 v15, 16, v37
	s_delay_alu instid0(VALU_DEP_3) | instskip(SKIP_1) | instid1(VALU_DEP_3)
	v_add_f16_e64 v138, v34, v11
	v_lshrrev_b32_e32 v11, 16, v28
	v_mul_f16_e64 v41, v15, v210
	v_fmac_f16_e64 v135, v15, v55
	s_delay_alu instid0(VALU_DEP_2) | instskip(SKIP_3) | instid1(VALU_DEP_3)
	v_fma_f16 v133, v37, v55, -v41
	v_lshrrev_b32_e32 v41, 16, v39
	v_fma_f16 v37, v145, 0x3abb, -v132
	v_mul_f16_e64 v145, v12, v202
	v_mul_f16_e64 v132, v41, v205
	s_delay_alu instid0(VALU_DEP_3) | instskip(SKIP_1) | instid1(VALU_DEP_3)
	v_add_f16_e64 v37, v147, v37
	v_fmac_f16_e64 v136, v41, v57
	v_fma_f16 v132, v39, v57, -v132
	v_fma_f16 v39, v150, 0x36a6, -v134
	s_delay_alu instid0(VALU_DEP_1) | instskip(SKIP_2) | instid1(VALU_DEP_2)
	v_add_f16_e32 v30, v39, v37
	v_lshrrev_b32_e32 v39, 16, v35
	v_fma_f16 v37, v163, 0xb08e, -v156
	v_mul_f16_e64 v40, v39, v207
	s_delay_alu instid0(VALU_DEP_2) | instskip(SKIP_2) | instid1(VALU_DEP_4)
	v_add_f16_e32 v30, v37, v30
	v_lshrrev_b32_e32 v37, 16, v33
	v_fmac_f16_e64 v137, v39, v59
	v_fma_f16 v134, v35, v59, -v40
	v_fma_f16 v35, v187, 0xb93d, -v169
	s_delay_alu instid0(VALU_DEP_4) | instskip(NEXT) | instid1(VALU_DEP_2)
	v_mul_f16_e64 v38, v37, v201
	v_add_f16_e32 v15, v35, v30
	s_delay_alu instid0(VALU_DEP_2) | instskip(SKIP_1) | instid1(VALU_DEP_3)
	v_fma_f16 v38, v33, v106, -v38
	v_mul_f16_e64 v33, v33, v201
	v_add_f16_e64 v140, v17, v15
	v_mul_f16_e64 v17, v28, v214
	s_delay_alu instid0(VALU_DEP_3) | instskip(NEXT) | instid1(VALU_DEP_2)
	v_fmac_f16_e32 v33, v37, v106
	v_fmac_f16_e32 v17, v11, v52
	v_mul_f16_e64 v11, v11, v214
	s_delay_alu instid0(VALU_DEP_1) | instskip(NEXT) | instid1(VALU_DEP_3)
	v_fma_f16 v23, v28, v52, -v11
	v_sub_f16_e32 v11, v17, v33
	s_delay_alu instid0(VALU_DEP_2) | instskip(NEXT) | instid1(VALU_DEP_2)
	v_add_f16_e32 v15, v23, v38
	v_mul_f16_e32 v25, 0xb853, v11
	v_mul_f16_e32 v30, 0xbb47, v11
	;; [unrolled: 1-line block ×5, first 2 shown]
	v_fma_f16 v28, v15, 0x3abb, -v25
	v_fmac_f16_e32 v25, 0x3abb, v15
	v_fma_f16 v34, v15, 0x36a6, -v30
	v_fmac_f16_e32 v30, 0x36a6, v15
	;; [unrolled: 2-line block ×5, first 2 shown]
	v_add_f16_e32 v28, v31, v28
	v_add_f16_e32 v11, v31, v25
	v_add_f16_e64 v143, v31, v34
	v_add_f16_e32 v41, v31, v30
	v_add_f16_e64 v144, v31, v40
	;; [unrolled: 2-line block ×3, first 2 shown]
	v_add_f16_e64 v151, v31, v37
	v_add_f16_e64 v152, v31, v142
	v_add_f16_e64 v153, v31, v39
	v_lshrrev_b32_e32 v15, 16, v31
	v_add_f16_e32 v25, v31, v23
	v_lshrrev_b32_e32 v30, 16, v26
	v_mul_f16_e64 v31, v26, v215
	v_lshrrev_b32_e32 v35, 16, v20
	v_add_f16_e32 v34, v15, v17
	v_add_f16_e32 v25, v25, v32
	v_mul_f16_e64 v141, v20, v208
	v_fmac_f16_e32 v31, v30, v54
	v_mul_f16_e64 v30, v30, v215
	v_lshrrev_b32_e32 v37, 16, v18
	v_add_f16_e32 v34, v34, v36
	v_mul_f16_e64 v142, v18, v209
	v_lshrrev_b32_e32 v39, 16, v12
	v_fma_f16 v26, v26, v54, -v30
	v_mul_f16_e64 v30, v35, v208
	v_add_f16_e32 v34, v34, v31
	v_fmac_f16_e64 v141, v35, v56
	v_fmac_f16_e64 v145, v39, v105
	v_add_f16_e32 v25, v25, v26
	v_fma_f16 v147, v20, v56, -v30
	v_add_f16_e64 v34, v34, v135
	v_fmac_f16_e64 v142, v37, v58
	v_sub_f16_e64 v155, v36, v145
	v_add_f16_e64 v20, v25, v133
	v_mul_f16_e64 v25, v37, v209
	v_add_f16_e64 v34, v34, v141
	v_sub_f16_e64 v154, v23, v38
	v_add_f16_e32 v17, v17, v33
	v_add_f16_e64 v20, v20, v147
	v_fma_f16 v25, v18, v58, -v25
	v_add_f16_e64 v34, v34, v136
	v_sub_f16_e64 v158, v31, v137
	v_sub_f16_e64 v159, v26, v134
	v_add_f16_e64 v18, v20, v132
	v_mul_f16_e64 v20, v39, v202
	v_add_f16_e64 v34, v34, v142
	v_mul_f16_e64 v39, 0xb853, v154
	v_mul_f16_e64 v37, 0xbbeb, v159
	v_add_f16_e32 v18, v18, v25
	v_fma_f16 v12, v12, v105, -v20
	v_add_f16_e64 v34, v34, v137
	v_add_f16_e64 v20, v36, v145
	v_sub_f16_e64 v160, v135, v142
	v_add_f16_e64 v18, v18, v134
	v_add_f16_e32 v23, v32, v12
	v_sub_f16_e64 v156, v32, v12
	v_add_f16_e64 v34, v34, v145
	v_add_f16_e64 v32, v26, v134
	v_add_f16_e32 v18, v18, v12
	v_mul_f16_e64 v12, 0xbb47, v155
	v_mul_f16_e64 v35, 0xbb47, v156
	v_add_f16_e64 v146, v34, v33
	v_sub_f16_e64 v161, v133, v25
	v_add_f16_e64 v149, v18, v38
	v_fma_f16 v18, v23, 0x36a6, -v12
	v_fmamk_f16 v30, v20, 0x36a6, v35
	v_sub_f16_e64 v162, v141, v136
	v_mul_f16_e64 v36, 0xba0c, v161
	v_sub_f16_e64 v163, v147, v132
	v_add_f16_e32 v28, v18, v28
	v_fmamk_f16 v18, v17, 0x3abb, v39
	v_pack_b32_f16 v130, v149, v146
	v_fmac_f16_e32 v12, 0x36a6, v23
	s_delay_alu instid0(VALU_DEP_3) | instskip(NEXT) | instid1(VALU_DEP_2)
	v_add_f16_e32 v18, v15, v18
	v_add_f16_e32 v11, v12, v11
	s_delay_alu instid0(VALU_DEP_2) | instskip(SKIP_4) | instid1(VALU_DEP_4)
	v_add_f16_e32 v33, v30, v18
	v_mul_f16_e64 v18, 0xbbeb, v158
	v_add_f16_e64 v30, v31, v137
	v_add_f16_e64 v31, v133, v25
	v_mul_f16_e64 v25, 0xba0c, v160
	v_fma_f16 v26, v32, 0xb08e, -v18
	v_fmac_f16_e32 v18, 0xb08e, v32
	s_delay_alu instid0(VALU_DEP_3) | instskip(SKIP_1) | instid1(VALU_DEP_4)
	v_fma_f16 v34, v31, 0xb93d, -v25
	v_fmac_f16_e32 v25, 0xb93d, v31
	v_add_f16_e32 v26, v26, v28
	v_fmamk_f16 v28, v30, 0xb08e, v37
	v_add_f16_e32 v11, v18, v11
	s_delay_alu instid0(VALU_DEP_3) | instskip(NEXT) | instid1(VALU_DEP_3)
	v_add_f16_e32 v38, v34, v26
	v_add_f16_e32 v33, v28, v33
	v_add_f16_e64 v28, v135, v142
	v_add_f16_e64 v34, v147, v132
	v_add_f16_e32 v11, v25, v11
	s_delay_alu instid0(VALU_DEP_3) | instskip(NEXT) | instid1(VALU_DEP_1)
	v_fmamk_f16 v26, v28, 0xb93d, v36
	v_add_f16_e64 v133, v26, v33
	v_mul_f16_e64 v26, 0xb482, v162
	v_add_f16_e64 v33, v141, v136
	s_delay_alu instid0(VALU_DEP_2) | instskip(SKIP_1) | instid1(VALU_DEP_2)
	v_fma_f16 v132, v34, 0xbbad, -v26
	v_fmac_f16_e32 v26, 0xbbad, v34
	v_add_f16_e64 v132, v132, v38
	v_mul_f16_e64 v38, 0xb482, v163
	s_delay_alu instid0(VALU_DEP_3) | instskip(NEXT) | instid1(VALU_DEP_2)
	v_add_f16_e32 v11, v26, v11
	v_fma_f16 v134, 0xbbad, v33, v38
	s_delay_alu instid0(VALU_DEP_1) | instskip(SKIP_1) | instid1(VALU_DEP_2)
	v_add_f16_e64 v133, v134, v133
	v_pack_b32_f16 v134, v138, v140
	v_pack_b32_f16 v131, v132, v133
	ds_store_b32 v224, v134 offset:280
	ds_store_2addr_b32 v223, v130, v131 offset1:7
	v_mul_f16_e64 v130, 0xba0c, v155
	s_delay_alu instid0(VALU_DEP_1) | instskip(SKIP_1) | instid1(VALU_DEP_2)
	v_fma_f16 v131, v23, 0xb93d, -v130
	v_fmac_f16_e64 v130, 0xb93d, v23
	v_add_f16_e64 v137, v131, v143
	v_mul_f16_e64 v131, 0xbb47, v154
	s_delay_alu instid0(VALU_DEP_3) | instskip(NEXT) | instid1(VALU_DEP_2)
	v_add_f16_e64 v41, v130, v41
	v_fma_f16 v132, 0x36a6, v17, v131
	v_fma_f16 v130, v17, 0x36a6, -v131
	s_delay_alu instid0(VALU_DEP_2) | instskip(SKIP_1) | instid1(VALU_DEP_3)
	v_add_f16_e64 v133, v15, v132
	v_mul_f16_e64 v132, 0xba0c, v156
	v_add_f16_e64 v130, v15, v130
	s_delay_alu instid0(VALU_DEP_2) | instskip(SKIP_1) | instid1(VALU_DEP_2)
	v_fma_f16 v134, 0xb93d, v20, v132
	v_fma_f16 v131, v20, 0xb93d, -v132
	v_add_f16_e64 v138, v134, v133
	v_mul_f16_e64 v133, 0x3482, v155
	s_delay_alu instid0(VALU_DEP_3) | instskip(NEXT) | instid1(VALU_DEP_2)
	v_add_f16_e64 v130, v131, v130
	v_fma_f16 v134, v23, 0xbbad, -v133
	v_fmac_f16_e64 v133, 0xbbad, v23
	s_delay_alu instid0(VALU_DEP_2) | instskip(SKIP_1) | instid1(VALU_DEP_3)
	v_add_f16_e64 v140, v134, v144
	v_mul_f16_e64 v134, 0xbbeb, v154
	v_add_f16_e64 v40, v133, v40
	s_delay_alu instid0(VALU_DEP_2) | instskip(SKIP_2) | instid1(VALU_DEP_3)
	v_fma_f16 v135, 0xb08e, v17, v134
	v_fma_f16 v131, v17, 0xb08e, -v134
	v_lshrrev_b32_e32 v134, 16, v22
	v_add_f16_e64 v136, v15, v135
	v_mul_f16_e64 v135, 0x3482, v156
	s_delay_alu instid0(VALU_DEP_4) | instskip(NEXT) | instid1(VALU_DEP_2)
	v_add_f16_e64 v131, v15, v131
	v_fma_f16 v141, 0xbbad, v20, v135
	v_fma_f16 v132, v20, 0xbbad, -v135
	v_mul_f16_e64 v135, v134, v246
	s_delay_alu instid0(VALU_DEP_3) | instskip(SKIP_1) | instid1(VALU_DEP_4)
	v_add_f16_e64 v141, v141, v136
	v_mul_f16_e64 v136, 0x3482, v158
	v_add_f16_e64 v131, v132, v131
	s_delay_alu instid0(VALU_DEP_4) | instskip(SKIP_1) | instid1(VALU_DEP_4)
	v_fma_f16 v135, v22, v63, -v135
	v_mul_f16_e64 v22, v22, v246
	v_fma_f16 v142, v32, 0xbbad, -v136
	v_fmac_f16_e64 v136, 0xbbad, v32
	s_delay_alu instid0(VALU_DEP_3) | instskip(NEXT) | instid1(VALU_DEP_3)
	v_fmac_f16_e64 v22, v134, v63
	v_add_f16_e64 v142, v142, v137
	v_mul_f16_e64 v137, 0x3482, v159
	s_delay_alu instid0(VALU_DEP_4) | instskip(NEXT) | instid1(VALU_DEP_2)
	v_add_f16_e64 v41, v136, v41
	v_fma_f16 v143, 0xbbad, v30, v137
	v_fma_f16 v132, v30, 0xbbad, -v137
	s_delay_alu instid0(VALU_DEP_2) | instskip(SKIP_1) | instid1(VALU_DEP_3)
	v_add_f16_e64 v143, v143, v138
	v_mul_f16_e64 v138, 0x3b47, v158
	v_add_f16_e64 v130, v132, v130
	s_delay_alu instid0(VALU_DEP_2) | instskip(SKIP_1) | instid1(VALU_DEP_2)
	v_fma_f16 v144, v32, 0x36a6, -v138
	v_fmac_f16_e64 v138, 0x36a6, v32
	v_add_f16_e64 v144, v144, v140
	v_mul_f16_e64 v140, 0x3b47, v159
	s_delay_alu instid0(VALU_DEP_3) | instskip(NEXT) | instid1(VALU_DEP_2)
	v_add_f16_e64 v40, v138, v40
	v_fma_f16 v145, 0x36a6, v30, v140
	v_fma_f16 v132, v30, 0x36a6, -v140
	s_delay_alu instid0(VALU_DEP_2) | instskip(SKIP_1) | instid1(VALU_DEP_3)
	v_add_f16_e64 v146, v145, v141
	v_mul_f16_e64 v141, 0x3beb, v160
	v_add_f16_e64 v131, v132, v131
	s_delay_alu instid0(VALU_DEP_2) | instskip(SKIP_1) | instid1(VALU_DEP_2)
	v_fma_f16 v145, v31, 0xb08e, -v141
	v_fmac_f16_e64 v141, 0xb08e, v31
	v_add_f16_e64 v147, v145, v142
	v_mul_f16_e64 v142, 0x3beb, v161
	s_delay_alu instid0(VALU_DEP_3) | instskip(NEXT) | instid1(VALU_DEP_2)
	;; [unrolled: 13-line block ×4, first 2 shown]
	v_add_f16_e64 v41, v146, v41
	v_fma_f16 v147, 0x3abb, v33, v144
	s_delay_alu instid0(VALU_DEP_1) | instskip(SKIP_1) | instid1(VALU_DEP_2)
	v_add_f16_e64 v169, v147, v149
	v_mul_f16_e64 v147, 0xba0c, v162
	v_pack_b32_f16 v168, v168, v169
	s_delay_alu instid0(VALU_DEP_2) | instskip(SKIP_3) | instid1(VALU_DEP_4)
	v_fma_f16 v149, v34, 0xb93d, -v147
	v_mul_f16_e64 v169, 0x3beb, v156
	v_mul_f16_e64 v156, 0x3853, v156
	v_fmac_f16_e64 v147, 0xb93d, v34
	v_add_f16_e64 v164, v149, v164
	v_mul_f16_e64 v149, 0xba0c, v163
	s_delay_alu instid0(VALU_DEP_4) | instskip(NEXT) | instid1(VALU_DEP_4)
	v_fma_f16 v176, 0x3abb, v20, v156
	v_add_f16_e64 v40, v147, v40
	s_delay_alu instid0(VALU_DEP_3) | instskip(SKIP_1) | instid1(VALU_DEP_2)
	v_fma_f16 v171, 0xb93d, v33, v149
	v_fma_f16 v132, v33, 0xb93d, -v149
	v_add_f16_e64 v166, v171, v166
	v_fma_f16 v171, 0xb08e, v20, v169
	s_delay_alu instid0(VALU_DEP_3) | instskip(SKIP_1) | instid1(VALU_DEP_4)
	v_add_f16_e64 v131, v132, v131
	v_fma_f16 v132, v33, 0x3abb, -v144
	v_pack_b32_f16 v164, v164, v166
	s_delay_alu instid0(VALU_DEP_3) | instskip(NEXT) | instid1(VALU_DEP_3)
	v_pack_b32_f16 v40, v40, v131
	v_add_f16_e64 v130, v132, v130
	v_lshrrev_b32_e32 v132, 16, v27
	ds_store_2addr_b32 v223, v168, v164 offset0:14 offset1:21
	v_mul_f16_e64 v164, 0x3beb, v155
	v_mul_f16_e64 v155, 0x3853, v155
	v_pack_b32_f16 v41, v41, v130
	v_lshrrev_b32_e32 v130, 16, v24
	v_mul_f16_e64 v133, v132, v248
	v_fma_f16 v166, v23, 0xb08e, -v164
	v_fmac_f16_e64 v164, 0xb08e, v23
	ds_store_2addr_b32 v223, v40, v41 offset0:56 offset1:63
	v_lshrrev_b32_e32 v40, 16, v29
	v_mul_f16_e64 v131, v130, v249
	v_add_f16_e64 v150, v166, v150
	v_mul_f16_e64 v166, 0xba0c, v154
	v_mul_f16_e64 v154, 0xb482, v154
	v_mul_f16_e64 v41, v40, v250
	v_fma_f16 v131, v24, v61, -v131
	v_mul_f16_e64 v24, v24, v249
	v_fma_f16 v168, 0xb93d, v17, v166
	v_fma_f16 v133, v27, v62, -v133
	v_fma_f16 v41, v29, v60, -v41
	v_mul_f16_e64 v29, v29, v250
	v_mul_f16_e64 v27, v27, v248
	v_add_f16_e64 v168, v15, v168
	v_fmac_f16_e64 v24, v130, v61
	s_delay_alu instid0(VALU_DEP_4) | instskip(SKIP_1) | instid1(VALU_DEP_4)
	v_fmac_f16_e32 v29, v40, v60
	v_lshrrev_b32_e32 v40, 16, v21
	v_add_f16_e64 v168, v171, v168
	v_fma_f16 v171, v23, 0x3abb, -v155
	v_fmac_f16_e64 v155, 0x3abb, v23
	v_fmac_f16_e64 v27, v132, v62
	v_lshrrev_b32_e32 v132, 16, v16
	s_delay_alu instid0(VALU_DEP_4) | instskip(SKIP_1) | instid1(VALU_DEP_3)
	v_add_f16_e64 v152, v171, v152
	v_fma_f16 v171, 0xbbad, v17, v154
	v_mul_f16_e64 v134, v132, v243
	s_delay_alu instid0(VALU_DEP_2) | instskip(NEXT) | instid1(VALU_DEP_2)
	v_add_f16_e64 v171, v15, v171
	v_fma_f16 v134, v16, v49, -v134
	v_mul_f16_e64 v16, v16, v243
	s_delay_alu instid0(VALU_DEP_3) | instskip(SKIP_2) | instid1(VALU_DEP_4)
	v_add_f16_e64 v171, v176, v171
	v_mul_f16_e64 v176, 0xb853, v158
	v_mul_f16_e64 v158, 0xba0c, v158
	v_fmac_f16_e64 v16, v132, v49
	s_delay_alu instid0(VALU_DEP_3) | instskip(SKIP_1) | instid1(VALU_DEP_2)
	v_fma_f16 v178, v32, 0x3abb, -v176
	v_fmac_f16_e64 v176, 0x3abb, v32
	v_add_f16_e64 v150, v178, v150
	v_mul_f16_e64 v178, 0xb853, v159
	v_mul_f16_e64 v159, 0xba0c, v159
	s_delay_alu instid0(VALU_DEP_2) | instskip(NEXT) | instid1(VALU_DEP_1)
	v_fma_f16 v183, 0x3abb, v30, v178
	v_add_f16_e64 v168, v183, v168
	v_fma_f16 v183, v32, 0xb93d, -v158
	v_fmac_f16_e64 v158, 0xb93d, v32
	s_delay_alu instid0(VALU_DEP_2) | instskip(SKIP_1) | instid1(VALU_DEP_1)
	v_add_f16_e64 v152, v183, v152
	v_fma_f16 v183, 0xb93d, v30, v159
	v_add_f16_e64 v171, v183, v171
	v_mul_f16_e64 v183, 0xb482, v160
	v_mul_f16_e64 v160, 0x3b47, v160
	s_delay_alu instid0(VALU_DEP_2) | instskip(SKIP_1) | instid1(VALU_DEP_2)
	v_fma_f16 v185, v31, 0xbbad, -v183
	v_fmac_f16_e64 v183, 0xbbad, v31
	v_add_f16_e64 v150, v185, v150
	v_mul_f16_e64 v185, 0xb482, v161
	v_mul_f16_e64 v161, 0x3b47, v161
	s_delay_alu instid0(VALU_DEP_2) | instskip(NEXT) | instid1(VALU_DEP_1)
	v_fma_f16 v187, 0xbbad, v28, v185
	v_add_f16_e64 v168, v187, v168
	v_fma_f16 v187, v31, 0x36a6, -v160
	v_fmac_f16_e64 v160, 0x36a6, v31
	s_delay_alu instid0(VALU_DEP_2) | instskip(SKIP_1) | instid1(VALU_DEP_1)
	v_add_f16_e64 v152, v187, v152
	v_fma_f16 v187, 0x36a6, v28, v161
	v_add_f16_e64 v171, v187, v171
	v_mul_f16_e64 v187, 0x3b47, v162
	v_mul_f16_e64 v162, 0xbbeb, v162
	s_delay_alu instid0(VALU_DEP_2) | instskip(SKIP_1) | instid1(VALU_DEP_2)
	v_fma_f16 v190, v34, 0x36a6, -v187
	v_fmac_f16_e64 v187, 0x36a6, v34
	v_add_f16_e64 v150, v190, v150
	v_mul_f16_e64 v190, 0x3b47, v163
	v_mul_f16_e64 v163, 0xbbeb, v163
	s_delay_alu instid0(VALU_DEP_2) | instskip(NEXT) | instid1(VALU_DEP_1)
	v_fma_f16 v193, 0x36a6, v33, v190
	v_add_f16_e64 v168, v193, v168
	v_fma_f16 v193, v34, 0xb08e, -v162
	v_fmac_f16_e64 v162, 0xb08e, v34
	s_delay_alu instid0(VALU_DEP_3) | instskip(NEXT) | instid1(VALU_DEP_3)
	v_pack_b32_f16 v150, v150, v168
	v_add_f16_e64 v152, v193, v152
	v_fma_f16 v193, 0xb08e, v33, v163
	s_delay_alu instid0(VALU_DEP_1) | instskip(NEXT) | instid1(VALU_DEP_1)
	v_add_f16_e64 v171, v193, v171
	v_pack_b32_f16 v152, v152, v171
	ds_store_2addr_b32 v223, v150, v152 offset0:28 offset1:35
	v_add_f16_e64 v150, v164, v151
	v_fma_f16 v151, v17, 0xb93d, -v166
	v_fma_f16 v152, v20, 0xb08e, -v169
	s_delay_alu instid0(VALU_DEP_3) | instskip(NEXT) | instid1(VALU_DEP_3)
	v_add_f16_e64 v150, v176, v150
	v_add_f16_e64 v151, v15, v151
	s_delay_alu instid0(VALU_DEP_2) | instskip(NEXT) | instid1(VALU_DEP_2)
	v_add_f16_e64 v150, v183, v150
	v_add_f16_e64 v151, v152, v151
	;; [unrolled: 1-line block ×3, first 2 shown]
	v_fma_f16 v153, v17, 0xbbad, -v154
	v_fma_f16 v154, v20, 0x3abb, -v156
	;; [unrolled: 1-line block ×3, first 2 shown]
	v_lshrrev_b32_e32 v39, 16, v19
	v_add_f16_e64 v152, v158, v152
	v_add_f16_e64 v153, v15, v153
	v_lshrrev_b32_e32 v158, 16, v51
	v_add_f16_e32 v15, v15, v17
	v_fma_f16 v17, v20, 0x36a6, -v35
	v_lshrrev_b32_e32 v20, 16, v14
	v_add_f16_e64 v153, v154, v153
	v_fma_f16 v154, v30, 0x3abb, -v178
	v_add_f16_e64 v152, v160, v152
	v_add_f16_e32 v12, v17, v15
	v_lshrrev_b32_e32 v17, 16, v13
	v_fma_f16 v15, v30, 0xb08e, -v37
	v_add_f16_e64 v151, v154, v151
	v_fma_f16 v154, v30, 0xb93d, -v159
	v_mul_f16_e64 v23, v20, v158
	v_mul_f16_e64 v30, v17, v241
	v_add_f16_e32 v12, v15, v12
	v_fma_f16 v15, v28, 0xb93d, -v36
	v_add_f16_e64 v153, v154, v153
	v_fma_f16 v154, v28, 0xbbad, -v185
	v_fma_f16 v30, v13, v99, -v30
	v_mul_f16_e64 v13, v13, v241
	v_add_f16_e32 v12, v15, v12
	v_fma_f16 v15, v33, 0xbbad, -v38
	v_add_f16_e64 v151, v154, v151
	v_fma_f16 v154, v28, 0x36a6, -v161
	v_fmac_f16_e32 v13, v17, v99
	v_lshrrev_b32_e32 v17, 16, v75
	v_fma_f16 v23, v14, v51, -v23
	v_mul_f16_e64 v14, v14, v158
	v_add_f16_e64 v153, v154, v153
	v_fma_f16 v154, v33, 0xb08e, -v163
	v_add_f16_e32 v12, v15, v12
	v_add_f16_e64 v152, v162, v152
	v_fmac_f16_e32 v14, v20, v51
	v_lshrrev_b32_e32 v162, 16, v48
	v_add_f16_e64 v153, v154, v153
	v_fma_f16 v154, v33, 0x36a6, -v190
	v_lshrrev_b32_e32 v160, 16, v50
	v_pack_b32_f16 v11, v11, v12
	v_mul_f16_e64 v130, v40, v162
	v_and_b32_e32 v12, 0xffff, v128
	v_add_f16_e64 v151, v154, v151
	v_lshrrev_b32_e32 v154, 16, v100
	v_mul_f16_e64 v136, v39, v160
	v_fma_f16 v130, v21, v48, -v130
	v_mul_f16_e64 v21, v21, v162
	v_add_f16_e64 v150, v187, v150
	v_mul_f16_e64 v18, v75, v154
	v_fma_f16 v136, v19, v50, -v136
	v_mul_f16_e64 v19, v19, v160
	v_fmac_f16_e32 v21, v40, v48
	v_mul_u32_u24_e32 v12, 0x4d, v12
	v_fmac_f16_e32 v18, v17, v100
	v_mul_f16_e64 v17, v17, v154
	v_fmac_f16_e32 v19, v39, v50
	v_pack_b32_f16 v152, v152, v153
	v_pack_b32_f16 v150, v150, v151
	v_sub_f16_e32 v15, v29, v18
	v_fma_f16 v17, v75, v100, -v17
	v_add_lshl_u32 v225, v12, v129, 2
	ds_store_2addr_b32 v223, v152, v150 offset0:42 offset1:49
	v_mul_f16_e32 v25, 0xb853, v15
	v_add_f16_e32 v20, v41, v17
	v_mul_f16_e32 v28, 0xbb47, v15
	v_mul_f16_e32 v32, 0xbbeb, v15
	;; [unrolled: 1-line block ×4, first 2 shown]
	v_fma_f16 v26, v20, 0x3abb, -v25
	v_fmac_f16_e32 v25, 0x3abb, v20
	v_fma_f16 v31, v20, 0x36a6, -v28
	v_fmac_f16_e32 v28, 0x36a6, v20
	;; [unrolled: 2-line block ×5, first 2 shown]
	v_add_f16_e32 v20, v10, v26
	v_add_f16_e32 v25, v10, v25
	;; [unrolled: 1-line block ×11, first 2 shown]
	v_lshrrev_b32_e32 v10, 16, v10
	s_delay_alu instid0(VALU_DEP_2) | instskip(NEXT) | instid1(VALU_DEP_2)
	v_add_f16_e64 v36, v36, v131
	v_add_f16_e32 v37, v10, v29
	s_delay_alu instid0(VALU_DEP_2) | instskip(NEXT) | instid1(VALU_DEP_2)
	v_add_f16_e64 v36, v36, v133
	v_add_f16_e32 v37, v37, v24
	;; [unrolled: 3-line block ×6, first 2 shown]
	s_delay_alu instid0(VALU_DEP_2) | instskip(NEXT) | instid1(VALU_DEP_2)
	v_add_f16_e32 v36, v36, v23
	v_add_f16_e32 v37, v37, v19
	s_delay_alu instid0(VALU_DEP_2) | instskip(NEXT) | instid1(VALU_DEP_2)
	v_add_f16_e32 v36, v36, v30
	v_add_f16_e32 v37, v37, v14
	;; [unrolled: 3-line block ×3, first 2 shown]
	v_sub_f16_e32 v17, v41, v17
	s_delay_alu instid0(VALU_DEP_2)
	v_add_f16_e32 v37, v37, v18
	v_add_f16_e32 v18, v29, v18
	v_sub_f16_e32 v29, v24, v13
	v_add_f16_e32 v13, v24, v13
	v_add_f16_e64 v24, v131, v30
	v_sub_f16_e64 v30, v131, v30
	v_pack_b32_f16 v12, v36, v37
	v_mul_f16_e32 v38, 0xbb47, v29
	s_delay_alu instid0(VALU_DEP_3) | instskip(SKIP_1) | instid1(VALU_DEP_3)
	v_mul_f16_e32 v41, 0xbb47, v30
	v_mul_f16_e32 v36, 0xba0c, v30
	v_fma_f16 v39, v24, 0x36a6, -v38
	v_mul_f16_e64 v129, 0x3482, v30
	v_fmac_f16_e32 v38, 0x36a6, v24
	v_fmamk_f16 v75, v13, 0x36a6, v41
	v_fmamk_f16 v37, v13, 0xb93d, v36
	v_add_f16_e32 v20, v39, v20
	v_mul_f16_e32 v39, 0xb853, v17
	s_delay_alu instid0(VALU_DEP_1) | instskip(NEXT) | instid1(VALU_DEP_1)
	v_fmamk_f16 v40, v18, 0x3abb, v39
	v_add_f16_e32 v40, v10, v40
	s_delay_alu instid0(VALU_DEP_1) | instskip(SKIP_4) | instid1(VALU_DEP_4)
	v_add_f16_e32 v40, v75, v40
	v_sub_f16_e32 v75, v27, v14
	v_add_f16_e32 v14, v27, v14
	v_add_f16_e64 v27, v133, v23
	v_sub_f16_e64 v23, v133, v23
	v_mul_f16_e64 v131, 0xbbeb, v75
	s_delay_alu instid0(VALU_DEP_1) | instskip(SKIP_1) | instid1(VALU_DEP_2)
	v_fma_f16 v132, v27, 0xb08e, -v131
	v_fmac_f16_e64 v131, 0xb08e, v27
	v_add_f16_e64 v20, v132, v20
	v_mul_f16_e64 v132, 0xbbeb, v23
	s_delay_alu instid0(VALU_DEP_1) | instskip(NEXT) | instid1(VALU_DEP_1)
	v_fma_f16 v133, 0xb08e, v14, v132
	v_add_f16_e64 v40, v133, v40
	v_sub_f16_e64 v133, v22, v19
	v_add_f16_e32 v19, v22, v19
	v_add_f16_e64 v22, v135, v136
	v_sub_f16_e64 v135, v135, v136
	s_delay_alu instid0(VALU_DEP_4) | instskip(NEXT) | instid1(VALU_DEP_1)
	v_mul_f16_e64 v136, 0xba0c, v133
	v_fma_f16 v137, v22, 0xb93d, -v136
	v_fmac_f16_e64 v136, 0xb93d, v22
	s_delay_alu instid0(VALU_DEP_2) | instskip(SKIP_1) | instid1(VALU_DEP_1)
	v_add_f16_e64 v20, v137, v20
	v_mul_f16_e64 v137, 0xba0c, v135
	v_fma_f16 v138, 0xb93d, v19, v137
	s_delay_alu instid0(VALU_DEP_1) | instskip(SKIP_4) | instid1(VALU_DEP_4)
	v_add_f16_e64 v40, v138, v40
	v_sub_f16_e64 v138, v21, v16
	v_add_f16_e32 v16, v21, v16
	v_add_f16_e64 v21, v130, v134
	v_sub_f16_e64 v130, v130, v134
	v_mul_f16_e64 v134, 0xb482, v138
	s_delay_alu instid0(VALU_DEP_1) | instskip(SKIP_1) | instid1(VALU_DEP_2)
	v_fma_f16 v140, v21, 0xbbad, -v134
	v_fmac_f16_e64 v134, 0xbbad, v21
	v_add_f16_e64 v20, v140, v20
	v_mul_f16_e64 v140, 0xb482, v130
	s_delay_alu instid0(VALU_DEP_1) | instskip(NEXT) | instid1(VALU_DEP_1)
	v_fma_f16 v141, 0xbbad, v16, v140
	v_add_f16_e64 v40, v141, v40
	v_fma_f16 v141, 0xbbad, v13, v129
	s_delay_alu instid0(VALU_DEP_2) | instskip(SKIP_4) | instid1(VALU_DEP_2)
	v_pack_b32_f16 v20, v20, v40
	ds_store_b32 v223, v11 offset:280
	ds_store_2addr_b32 v225, v12, v20 offset1:7
	v_mul_f16_e32 v11, 0xba0c, v29
	v_mul_f16_e32 v20, 0xbb47, v17
	v_fma_f16 v12, v24, 0xb93d, -v11
	v_fmac_f16_e32 v11, 0xb93d, v24
	s_delay_alu instid0(VALU_DEP_2) | instskip(NEXT) | instid1(VALU_DEP_4)
	v_add_f16_e32 v12, v12, v26
	v_fmamk_f16 v26, v18, 0x36a6, v20
	s_delay_alu instid0(VALU_DEP_3) | instskip(NEXT) | instid1(VALU_DEP_2)
	v_add_f16_e32 v11, v11, v28
	v_add_f16_e32 v26, v10, v26
	s_delay_alu instid0(VALU_DEP_1) | instskip(SKIP_1) | instid1(VALU_DEP_1)
	v_add_f16_e32 v26, v37, v26
	v_mul_f16_e32 v37, 0x3482, v29
	v_fma_f16 v40, v24, 0xbbad, -v37
	v_fmac_f16_e32 v37, 0xbbad, v24
	s_delay_alu instid0(VALU_DEP_2) | instskip(SKIP_1) | instid1(VALU_DEP_1)
	v_add_f16_e32 v31, v40, v31
	v_mul_f16_e32 v40, 0xbbeb, v17
	v_fma_f16 v128, 0xb08e, v18, v40
	s_delay_alu instid0(VALU_DEP_1) | instskip(NEXT) | instid1(VALU_DEP_1)
	v_add_f16_e64 v128, v10, v128
	v_add_f16_e64 v128, v141, v128
	v_mul_f16_e64 v141, 0x3482, v75
	s_delay_alu instid0(VALU_DEP_1) | instskip(SKIP_1) | instid1(VALU_DEP_2)
	v_fma_f16 v142, v27, 0xbbad, -v141
	v_fmac_f16_e64 v141, 0xbbad, v27
	v_add_f16_e64 v12, v142, v12
	v_mul_f16_e64 v142, 0x3482, v23
	s_delay_alu instid0(VALU_DEP_3) | instskip(NEXT) | instid1(VALU_DEP_2)
	v_add_f16_e64 v11, v141, v11
	v_fma_f16 v143, 0xbbad, v14, v142
	s_delay_alu instid0(VALU_DEP_1) | instskip(SKIP_1) | instid1(VALU_DEP_1)
	v_add_f16_e64 v26, v143, v26
	v_mul_f16_e64 v143, 0x3b47, v75
	v_fma_f16 v144, v27, 0x36a6, -v143
	v_fmac_f16_e64 v143, 0x36a6, v27
	s_delay_alu instid0(VALU_DEP_2) | instskip(SKIP_1) | instid1(VALU_DEP_1)
	v_add_f16_e64 v31, v144, v31
	v_mul_f16_e64 v144, 0x3b47, v23
	v_fma_f16 v145, 0x36a6, v14, v144
	s_delay_alu instid0(VALU_DEP_1) | instskip(SKIP_1) | instid1(VALU_DEP_1)
	v_add_f16_e64 v128, v145, v128
	v_mul_f16_e64 v145, 0x3beb, v133
	v_fma_f16 v146, v22, 0xb08e, -v145
	v_fmac_f16_e64 v145, 0xb08e, v22
	s_delay_alu instid0(VALU_DEP_2) | instskip(SKIP_1) | instid1(VALU_DEP_3)
	v_add_f16_e64 v12, v146, v12
	v_mul_f16_e64 v146, 0x3beb, v135
	v_add_f16_e64 v11, v145, v11
	s_delay_alu instid0(VALU_DEP_2) | instskip(NEXT) | instid1(VALU_DEP_1)
	v_fma_f16 v147, 0xb08e, v19, v146
	v_add_f16_e64 v26, v147, v26
	v_mul_f16_e64 v147, 0xb853, v133
	s_delay_alu instid0(VALU_DEP_1) | instskip(SKIP_1) | instid1(VALU_DEP_2)
	v_fma_f16 v149, v22, 0x3abb, -v147
	v_fmac_f16_e64 v147, 0x3abb, v22
	v_add_f16_e64 v31, v149, v31
	v_mul_f16_e64 v149, 0xb853, v135
	s_delay_alu instid0(VALU_DEP_1) | instskip(NEXT) | instid1(VALU_DEP_1)
	v_fma_f16 v150, 0x3abb, v19, v149
	v_add_f16_e64 v128, v150, v128
	v_mul_f16_e64 v150, 0x3853, v138
	s_delay_alu instid0(VALU_DEP_1) | instskip(SKIP_1) | instid1(VALU_DEP_2)
	v_fma_f16 v151, v21, 0x3abb, -v150
	v_fmac_f16_e64 v150, 0x3abb, v21
	v_add_f16_e64 v12, v151, v12
	v_mul_f16_e64 v151, 0x3853, v130
	s_delay_alu instid0(VALU_DEP_3) | instskip(NEXT) | instid1(VALU_DEP_2)
	v_add_f16_e64 v11, v150, v11
	v_fma_f16 v152, 0x3abb, v16, v151
	s_delay_alu instid0(VALU_DEP_1) | instskip(SKIP_1) | instid1(VALU_DEP_2)
	v_add_f16_e64 v26, v152, v26
	v_mul_f16_e64 v152, 0xba0c, v138
	v_pack_b32_f16 v12, v12, v26
	s_delay_alu instid0(VALU_DEP_2) | instskip(SKIP_1) | instid1(VALU_DEP_2)
	v_fma_f16 v153, v21, 0xb93d, -v152
	v_fmac_f16_e64 v152, 0xb93d, v21
	v_add_f16_e64 v31, v153, v31
	v_mul_f16_e64 v153, 0xba0c, v130
	s_delay_alu instid0(VALU_DEP_1) | instskip(NEXT) | instid1(VALU_DEP_1)
	v_fma_f16 v155, 0xb93d, v16, v153
	v_add_f16_e64 v128, v155, v128
	s_delay_alu instid0(VALU_DEP_1)
	v_pack_b32_f16 v26, v31, v128
	v_mul_f16_e32 v31, 0xba0c, v17
	v_mul_f16_e64 v128, 0x3beb, v30
	v_mul_f16_e32 v17, 0xb482, v17
	v_mul_f16_e32 v30, 0x3853, v30
	ds_store_2addr_b32 v225, v12, v26 offset0:14 offset1:21
	v_mul_f16_e32 v12, 0x3beb, v29
	v_fma_f16 v155, 0xb08e, v13, v128
	v_mul_f16_e32 v29, 0x3853, v29
	v_fma_f16 v156, 0x3abb, v13, v30
	s_delay_alu instid0(VALU_DEP_4) | instskip(SKIP_1) | instid1(VALU_DEP_2)
	v_fma_f16 v26, v24, 0xb08e, -v12
	v_fmac_f16_e32 v12, 0xb08e, v24
	v_add_f16_e32 v26, v26, v34
	v_fmamk_f16 v34, v18, 0xb93d, v31
	s_delay_alu instid0(VALU_DEP_3) | instskip(NEXT) | instid1(VALU_DEP_2)
	v_add_f16_e32 v12, v12, v33
	v_add_f16_e32 v34, v10, v34
	s_delay_alu instid0(VALU_DEP_1) | instskip(SKIP_2) | instid1(VALU_DEP_2)
	v_add_f16_e64 v34, v155, v34
	v_fma_f16 v155, v24, 0x3abb, -v29
	v_fmac_f16_e32 v29, 0x3abb, v24
	v_add_f16_e64 v35, v155, v35
	v_fma_f16 v155, 0xbbad, v18, v17
	v_fma_f16 v17, v18, 0xbbad, -v17
	s_delay_alu instid0(VALU_DEP_4) | instskip(SKIP_1) | instid1(VALU_DEP_4)
	v_add_f16_e32 v15, v29, v15
	v_fma_f16 v29, v13, 0x3abb, -v30
	v_add_f16_e64 v155, v10, v155
	s_delay_alu instid0(VALU_DEP_4) | instskip(NEXT) | instid1(VALU_DEP_2)
	v_add_f16_e32 v17, v10, v17
	v_add_f16_e64 v155, v156, v155
	v_mul_f16_e64 v156, 0xb853, v75
	v_mul_f16_e32 v75, 0xba0c, v75
	s_delay_alu instid0(VALU_DEP_4) | instskip(NEXT) | instid1(VALU_DEP_3)
	v_add_f16_e32 v17, v29, v17
	v_fma_f16 v159, v27, 0x3abb, -v156
	v_fmac_f16_e64 v156, 0x3abb, v27
	s_delay_alu instid0(VALU_DEP_2) | instskip(SKIP_2) | instid1(VALU_DEP_4)
	v_add_f16_e64 v26, v159, v26
	v_mul_f16_e64 v159, 0xb853, v23
	v_mul_f16_e32 v23, 0xba0c, v23
	v_add_f16_e64 v12, v156, v12
	s_delay_alu instid0(VALU_DEP_3) | instskip(SKIP_1) | instid1(VALU_DEP_2)
	v_fma_f16 v161, 0x3abb, v14, v159
	v_fma_f16 v29, v14, 0x3abb, -v159
	v_add_f16_e64 v34, v161, v34
	v_fma_f16 v161, v27, 0xb93d, -v75
	v_fmac_f16_e32 v75, 0xb93d, v27
	s_delay_alu instid0(VALU_DEP_2) | instskip(SKIP_2) | instid1(VALU_DEP_4)
	v_add_f16_e64 v35, v161, v35
	v_fma_f16 v161, 0xb93d, v14, v23
	v_fma_f16 v23, v14, 0xb93d, -v23
	v_add_f16_e32 v15, v75, v15
	s_delay_alu instid0(VALU_DEP_3) | instskip(SKIP_3) | instid1(VALU_DEP_3)
	v_add_f16_e64 v155, v161, v155
	v_mul_f16_e64 v161, 0xb482, v133
	v_mul_f16_e64 v133, 0x3b47, v133
	v_add_f16_e32 v17, v23, v17
	v_fma_f16 v163, v22, 0xbbad, -v161
	v_fmac_f16_e64 v161, 0xbbad, v22
	s_delay_alu instid0(VALU_DEP_2) | instskip(SKIP_2) | instid1(VALU_DEP_4)
	v_add_f16_e64 v26, v163, v26
	v_mul_f16_e64 v163, 0xb482, v135
	v_mul_f16_e64 v135, 0x3b47, v135
	v_add_f16_e64 v12, v161, v12
	s_delay_alu instid0(VALU_DEP_3) | instskip(SKIP_1) | instid1(VALU_DEP_2)
	v_fma_f16 v164, 0xbbad, v19, v163
	v_fma_f16 v23, v19, 0xbbad, -v163
	v_add_f16_e64 v34, v164, v34
	v_fma_f16 v164, v22, 0x36a6, -v133
	v_fmac_f16_e64 v133, 0x36a6, v22
	s_delay_alu instid0(VALU_DEP_2) | instskip(SKIP_1) | instid1(VALU_DEP_3)
	v_add_f16_e64 v35, v164, v35
	v_fma_f16 v164, 0x36a6, v19, v135
	v_add_f16_e64 v15, v133, v15
	s_delay_alu instid0(VALU_DEP_2) | instskip(SKIP_2) | instid1(VALU_DEP_2)
	v_add_f16_e64 v155, v164, v155
	v_mul_f16_e64 v164, 0x3b47, v138
	v_mul_f16_e64 v138, 0xbbeb, v138
	v_fma_f16 v166, v21, 0x36a6, -v164
	v_fmac_f16_e64 v164, 0x36a6, v21
	s_delay_alu instid0(VALU_DEP_2) | instskip(SKIP_2) | instid1(VALU_DEP_4)
	v_add_f16_e64 v26, v166, v26
	v_mul_f16_e64 v166, 0x3b47, v130
	v_mul_f16_e64 v130, 0xbbeb, v130
	v_add_f16_e64 v12, v164, v12
	s_delay_alu instid0(VALU_DEP_3) | instskip(NEXT) | instid1(VALU_DEP_1)
	v_fma_f16 v168, 0x36a6, v16, v166
	v_add_f16_e64 v34, v168, v34
	v_fma_f16 v168, v21, 0xb08e, -v138
	v_fmac_f16_e64 v138, 0xb08e, v21
	s_delay_alu instid0(VALU_DEP_3) | instskip(NEXT) | instid1(VALU_DEP_3)
	v_pack_b32_f16 v26, v26, v34
	v_add_f16_e64 v35, v168, v35
	v_fma_f16 v168, 0xb08e, v16, v130
	s_delay_alu instid0(VALU_DEP_4) | instskip(NEXT) | instid1(VALU_DEP_2)
	v_add_f16_e64 v15, v138, v15
	v_add_f16_e64 v155, v168, v155
	s_delay_alu instid0(VALU_DEP_1) | instskip(SKIP_3) | instid1(VALU_DEP_2)
	v_pack_b32_f16 v34, v35, v155
	ds_store_2addr_b32 v225, v26, v34 offset0:28 offset1:35
	v_fma_f16 v26, v18, 0xb93d, -v31
	v_fma_f16 v31, v13, 0xb08e, -v128
	v_add_f16_e32 v26, v10, v26
	s_delay_alu instid0(VALU_DEP_1) | instskip(SKIP_1) | instid1(VALU_DEP_2)
	v_add_f16_e32 v26, v31, v26
	v_sub_f16_e32 v31, v80, v78
	v_add_f16_e32 v26, v29, v26
	s_delay_alu instid0(VALU_DEP_1) | instskip(SKIP_1) | instid1(VALU_DEP_1)
	v_add_f16_e32 v23, v23, v26
	v_fma_f16 v26, v19, 0x36a6, -v135
	v_add_f16_e32 v17, v26, v17
	v_fma_f16 v26, v16, 0xb08e, -v130
	s_delay_alu instid0(VALU_DEP_1) | instskip(SKIP_1) | instid1(VALU_DEP_2)
	v_add_f16_e32 v17, v26, v17
	v_fma_f16 v26, v16, 0x36a6, -v166
	v_pack_b32_f16 v15, v15, v17
	s_delay_alu instid0(VALU_DEP_2) | instskip(SKIP_1) | instid1(VALU_DEP_2)
	v_add_f16_e32 v23, v26, v23
	v_fma_f16 v17, v18, 0xb08e, -v40
	v_pack_b32_f16 v12, v12, v23
	s_delay_alu instid0(VALU_DEP_2) | instskip(SKIP_4) | instid1(VALU_DEP_3)
	v_add_f16_e32 v17, v10, v17
	ds_store_2addr_b32 v225, v15, v12 offset0:42 offset1:49
	v_fma_f16 v12, v18, 0x36a6, -v20
	v_fma_f16 v15, v13, 0xb93d, -v36
	;; [unrolled: 1-line block ×3, first 2 shown]
	v_add_f16_e32 v12, v10, v12
	s_delay_alu instid0(VALU_DEP_2) | instskip(SKIP_1) | instid1(VALU_DEP_3)
	v_add_f16_e32 v17, v20, v17
	v_fma_f16 v20, v14, 0xbbad, -v142
	v_add_f16_e32 v12, v15, v12
	v_add_f16_e32 v15, v37, v32
	s_delay_alu instid0(VALU_DEP_2) | instskip(SKIP_1) | instid1(VALU_DEP_3)
	v_add_f16_e32 v12, v20, v12
	v_fma_f16 v20, v14, 0x36a6, -v144
	v_add_f16_e64 v15, v143, v15
	s_delay_alu instid0(VALU_DEP_2) | instskip(SKIP_1) | instid1(VALU_DEP_3)
	v_add_f16_e32 v17, v20, v17
	v_fma_f16 v20, v19, 0xb08e, -v146
	v_add_f16_e64 v15, v147, v15
	;; [unrolled: 4-line block ×3, first 2 shown]
	s_delay_alu instid0(VALU_DEP_2) | instskip(SKIP_1) | instid1(VALU_DEP_1)
	v_add_f16_e32 v17, v20, v17
	v_fma_f16 v20, v16, 0xb93d, -v153
	v_add_f16_e32 v17, v20, v17
	v_fma_f16 v20, v16, 0x3abb, -v151
	s_delay_alu instid0(VALU_DEP_2) | instskip(NEXT) | instid1(VALU_DEP_2)
	v_pack_b32_f16 v15, v15, v17
	v_add_f16_e32 v12, v20, v12
	v_add_f16_e32 v17, v110, v43
	s_delay_alu instid0(VALU_DEP_2) | instskip(SKIP_4) | instid1(VALU_DEP_2)
	v_pack_b32_f16 v11, v11, v12
	v_add_f16_e32 v12, v38, v25
	ds_store_2addr_b32 v225, v15, v11 offset0:56 offset1:63
	v_fma_f16 v11, v18, 0x3abb, -v39
	v_add_f16_e64 v12, v131, v12
	v_add_f16_e32 v10, v10, v11
	v_fma_f16 v11, v13, 0x36a6, -v41
	s_delay_alu instid0(VALU_DEP_3) | instskip(NEXT) | instid1(VALU_DEP_2)
	v_add_f16_e64 v12, v136, v12
	v_add_f16_e32 v10, v11, v10
	v_fma_f16 v11, v14, 0xb08e, -v132
	s_delay_alu instid0(VALU_DEP_3) | instskip(SKIP_1) | instid1(VALU_DEP_3)
	v_add_f16_e64 v25, v134, v12
	v_sub_f16_e32 v14, v9, v107
	v_add_f16_e32 v10, v11, v10
	v_fma_f16 v11, v19, 0xb93d, -v137
	v_sub_f16_e32 v19, v87, v42
	s_delay_alu instid0(VALU_DEP_2) | instskip(SKIP_2) | instid1(VALU_DEP_4)
	v_add_f16_e32 v10, v11, v10
	v_fma_f16 v11, v16, 0xbbad, -v140
	v_add_f16_e32 v16, v112, v108
	v_mul_f16_e32 v22, 0xba0c, v19
	v_mul_f16_e32 v24, 0x3482, v19
	;; [unrolled: 1-line block ×3, first 2 shown]
	v_add_f16_e32 v26, v11, v10
	v_mul_f16_e32 v11, 0xb853, v126
	v_mul_f16_e32 v10, 0xbb47, v127
	v_fmamk_f16 v23, v17, 0xb93d, v22
	v_fma_f16 v22, v17, 0xb93d, -v22
	v_fmamk_f16 v27, v17, 0xbbad, v24
	v_fmamk_f16 v12, v120, 0x3abb, v11
	;; [unrolled: 1-line block ×3, first 2 shown]
	v_fma_f16 v24, v17, 0xbbad, -v24
	v_fmamk_f16 v29, v17, 0xb08e, v28
	v_fma_f16 v28, v17, 0xb08e, -v28
	v_add_f16_e32 v12, v8, v12
	v_pack_b32_f16 v25, v25, v26
	s_delay_alu instid0(VALU_DEP_2) | instskip(SKIP_3) | instid1(VALU_DEP_1)
	v_add_f16_e32 v15, v13, v12
	v_mul_f16_e32 v13, 0xb853, v14
	ds_store_b32 v225, v25 offset:280
	v_fma_f16 v12, v16, 0x3abb, -v13
	v_add_f16_e32 v18, v69, v12
	v_mul_f16_e32 v12, 0xbb47, v19
	v_mul_f16_e32 v19, 0x3853, v19
	s_delay_alu instid0(VALU_DEP_2) | instskip(NEXT) | instid1(VALU_DEP_1)
	v_fma_f16 v20, v17, 0x36a6, -v12
	v_add_f16_e32 v18, v20, v18
	v_mul_f16_e32 v20, 0xbb47, v14
	s_delay_alu instid0(VALU_DEP_1) | instskip(SKIP_1) | instid1(VALU_DEP_2)
	v_fmamk_f16 v21, v16, 0x36a6, v20
	v_fma_f16 v20, v16, 0x36a6, -v20
	v_add_f16_e32 v21, v69, v21
	s_delay_alu instid0(VALU_DEP_2) | instskip(NEXT) | instid1(VALU_DEP_2)
	v_add_f16_e32 v20, v69, v20
	v_add_f16_e32 v21, v23, v21
	s_delay_alu instid0(VALU_DEP_2) | instskip(SKIP_1) | instid1(VALU_DEP_1)
	v_add_f16_e32 v20, v22, v20
	v_mul_f16_e32 v22, 0xbbeb, v14
	v_fmamk_f16 v23, v16, 0xb08e, v22
	v_fma_f16 v22, v16, 0xb08e, -v22
	s_delay_alu instid0(VALU_DEP_2) | instskip(NEXT) | instid1(VALU_DEP_2)
	v_add_f16_e32 v23, v69, v23
	v_add_f16_e32 v22, v69, v22
	s_delay_alu instid0(VALU_DEP_2) | instskip(NEXT) | instid1(VALU_DEP_2)
	v_add_f16_e32 v23, v27, v23
	v_add_f16_e32 v22, v24, v22
	v_mul_f16_e32 v24, 0xba0c, v14
	v_mul_f16_e32 v14, 0xb482, v14
	s_delay_alu instid0(VALU_DEP_2) | instskip(SKIP_1) | instid1(VALU_DEP_2)
	v_fmamk_f16 v27, v16, 0xb93d, v24
	v_fma_f16 v24, v16, 0xb93d, -v24
	v_add_f16_e32 v27, v69, v27
	s_delay_alu instid0(VALU_DEP_2) | instskip(NEXT) | instid1(VALU_DEP_2)
	v_add_f16_e32 v24, v69, v24
	v_add_f16_e32 v27, v29, v27
	s_delay_alu instid0(VALU_DEP_2) | instskip(SKIP_4) | instid1(VALU_DEP_4)
	v_add_f16_e32 v24, v28, v24
	v_fmamk_f16 v28, v16, 0xbbad, v14
	v_fma_f16 v14, v16, 0xbbad, -v14
	v_fmamk_f16 v29, v17, 0x3abb, v19
	v_fma_f16 v19, v17, 0x3abb, -v19
	v_add_f16_e32 v28, v69, v28
	s_delay_alu instid0(VALU_DEP_4) | instskip(NEXT) | instid1(VALU_DEP_2)
	v_add_f16_e32 v14, v69, v14
	v_add_f16_e32 v28, v29, v28
	s_delay_alu instid0(VALU_DEP_2) | instskip(SKIP_1) | instid1(VALU_DEP_1)
	v_add_f16_e32 v29, v19, v14
	v_mul_f16_e32 v14, 0xbbeb, v125
	v_fmamk_f16 v19, v122, 0xb08e, v14
	s_delay_alu instid0(VALU_DEP_1) | instskip(SKIP_2) | instid1(VALU_DEP_1)
	v_add_f16_e32 v30, v19, v15
	v_add_f16_e32 v19, v84, v86
	v_mul_f16_e32 v15, 0xbbeb, v31
	v_fma_f16 v32, v19, 0xb08e, -v15
	s_delay_alu instid0(VALU_DEP_1) | instskip(SKIP_1) | instid1(VALU_DEP_1)
	v_add_f16_e32 v32, v32, v18
	v_mul_f16_e32 v18, 0x3482, v31
	v_fmamk_f16 v33, v19, 0xbbad, v18
	v_fma_f16 v18, v19, 0xbbad, -v18
	s_delay_alu instid0(VALU_DEP_2) | instskip(NEXT) | instid1(VALU_DEP_2)
	v_add_f16_e32 v21, v33, v21
	v_add_f16_e32 v33, v18, v20
	v_mul_f16_e32 v18, 0x3b47, v31
	s_delay_alu instid0(VALU_DEP_1) | instskip(SKIP_1) | instid1(VALU_DEP_2)
	v_fmamk_f16 v20, v19, 0x36a6, v18
	v_fma_f16 v18, v19, 0x36a6, -v18
	v_add_f16_e32 v34, v20, v23
	s_delay_alu instid0(VALU_DEP_2) | instskip(SKIP_2) | instid1(VALU_DEP_2)
	v_add_f16_e32 v22, v18, v22
	v_mul_f16_e32 v18, 0xb853, v31
	v_add_f16_e32 v23, v111, v79
	v_fmamk_f16 v20, v19, 0x3abb, v18
	v_fma_f16 v18, v19, 0x3abb, -v18
	s_delay_alu instid0(VALU_DEP_2) | instskip(NEXT) | instid1(VALU_DEP_2)
	v_add_f16_e32 v27, v20, v27
	v_add_f16_e32 v24, v18, v24
	v_mul_f16_e32 v18, 0xba0c, v31
	v_sub_f16_e32 v31, v81, v77
	s_delay_alu instid0(VALU_DEP_2) | instskip(SKIP_1) | instid1(VALU_DEP_2)
	v_fmamk_f16 v20, v19, 0xb93d, v18
	v_fma_f16 v18, v19, 0xb93d, -v18
	v_add_f16_e32 v28, v20, v28
	s_delay_alu instid0(VALU_DEP_2) | instskip(SKIP_1) | instid1(VALU_DEP_1)
	v_add_f16_e32 v29, v18, v29
	v_mul_f16_e32 v18, 0xba0c, v124
	v_fmamk_f16 v20, v113, 0xb93d, v18
	s_delay_alu instid0(VALU_DEP_1) | instskip(SKIP_1) | instid1(VALU_DEP_1)
	v_add_f16_e32 v30, v20, v30
	v_mul_f16_e32 v20, 0xba0c, v31
	v_fma_f16 v35, v23, 0xb93d, -v20
	s_delay_alu instid0(VALU_DEP_1) | instskip(SKIP_1) | instid1(VALU_DEP_1)
	v_add_f16_e32 v32, v35, v32
	v_mul_f16_e32 v35, 0x3beb, v31
	v_fmamk_f16 v36, v23, 0xb08e, v35
	s_delay_alu instid0(VALU_DEP_1) | instskip(SKIP_1) | instid1(VALU_DEP_1)
	v_add_f16_e32 v36, v36, v21
	v_fma_f16 v21, v23, 0xb08e, -v35
	v_add_f16_e32 v33, v21, v33
	v_mul_f16_e32 v21, 0xb853, v31
	s_delay_alu instid0(VALU_DEP_1) | instskip(SKIP_1) | instid1(VALU_DEP_2)
	v_fmamk_f16 v35, v23, 0x3abb, v21
	v_fma_f16 v21, v23, 0x3abb, -v21
	v_add_f16_e32 v34, v35, v34
	s_delay_alu instid0(VALU_DEP_2) | instskip(SKIP_1) | instid1(VALU_DEP_1)
	v_add_f16_e32 v35, v21, v22
	v_mul_f16_e32 v21, 0xb482, v31
	v_fmamk_f16 v22, v23, 0xbbad, v21
	v_fma_f16 v21, v23, 0xbbad, -v21
	s_delay_alu instid0(VALU_DEP_2) | instskip(NEXT) | instid1(VALU_DEP_2)
	v_add_f16_e32 v27, v22, v27
	v_add_f16_e32 v37, v21, v24
	v_mul_f16_e32 v21, 0x3b47, v31
	v_add_f16_e32 v24, v85, v109
	s_delay_alu instid0(VALU_DEP_2) | instskip(SKIP_1) | instid1(VALU_DEP_2)
	v_fmamk_f16 v22, v23, 0x36a6, v21
	v_fma_f16 v21, v23, 0x36a6, -v21
	v_add_f16_e32 v28, v22, v28
	s_delay_alu instid0(VALU_DEP_2) | instskip(SKIP_1) | instid1(VALU_DEP_1)
	v_add_f16_e32 v29, v21, v29
	v_mul_f16_e32 v21, 0xb482, v123
	v_fmamk_f16 v22, v119, 0xbbad, v21
	s_delay_alu instid0(VALU_DEP_1) | instskip(SKIP_1) | instid1(VALU_DEP_1)
	v_add_f16_e64 v230, v22, v30
	v_sub_f16_e32 v30, v82, v83
	v_mul_f16_e32 v22, 0xb482, v30
	s_delay_alu instid0(VALU_DEP_1) | instskip(NEXT) | instid1(VALU_DEP_1)
	v_fma_f16 v31, v24, 0xbbad, -v22
	v_add_f16_e64 v234, v31, v32
	v_mul_f16_e32 v31, 0x3853, v30
	s_delay_alu instid0(VALU_DEP_1) | instskip(SKIP_1) | instid1(VALU_DEP_2)
	v_fmamk_f16 v32, v24, 0x3abb, v31
	v_fma_f16 v31, v24, 0x3abb, -v31
	v_add_f16_e64 v236, v32, v36
	s_delay_alu instid0(VALU_DEP_2) | instskip(SKIP_1) | instid1(VALU_DEP_1)
	v_add_f16_e64 v233, v31, v33
	v_mul_f16_e32 v31, 0xba0c, v30
	v_fmamk_f16 v32, v24, 0xb93d, v31
	v_fma_f16 v31, v24, 0xb93d, -v31
	s_delay_alu instid0(VALU_DEP_2) | instskip(NEXT) | instid1(VALU_DEP_2)
	v_add_f16_e64 v237, v32, v34
	v_add_f16_e64 v231, v31, v35
	v_mul_f16_e32 v31, 0x3b47, v30
	s_delay_alu instid0(VALU_DEP_1) | instskip(NEXT) | instid1(VALU_DEP_1)
	v_fmamk_f16 v32, v24, 0x36a6, v31
	v_add_f16_e64 v238, v32, v27
	v_fma_f16 v27, v24, 0x36a6, -v31
	s_delay_alu instid0(VALU_DEP_1) | instskip(SKIP_1) | instid1(VALU_DEP_1)
	v_add_f16_e64 v232, v27, v37
	v_mul_f16_e32 v27, 0xbbeb, v30
	v_fmamk_f16 v30, v24, 0xb08e, v27
	v_fma_f16 v26, v24, 0xb08e, -v27
	s_delay_alu instid0(VALU_DEP_2) | instskip(NEXT) | instid1(VALU_DEP_2)
	v_add_f16_e64 v229, v30, v28
	v_add_f16_e64 v228, v26, v29
	s_and_saveexec_b32 s0, vcc_lo
	s_cbranch_execz .LBB0_5
; %bb.4:
	v_mul_f16_e32 v16, 0x3abb, v16
	v_mul_f16_e32 v25, 0x3abb, v120
	;; [unrolled: 1-line block ×5, first 2 shown]
	v_add_f16_e32 v13, v13, v16
	v_sub_f16_e32 v11, v25, v11
	v_add_f16_e32 v12, v12, v17
	v_mul_f16_e32 v27, 0xb08e, v122
	v_add_f16_e32 v9, v8, v9
	v_add_f16_e32 v13, v69, v13
	v_mul_f16_e32 v23, 0xb93d, v23
	v_add_f16_e32 v8, v8, v11
	v_sub_f16_e32 v10, v26, v10
	v_mul_f16_e32 v16, 0xbbad, v24
	v_add_f16_e32 v11, v12, v13
	v_add_f16_e32 v13, v15, v19
	;; [unrolled: 1-line block ×4, first 2 shown]
	v_sub_f16_e32 v10, v27, v14
	scratch_load_b32 v14, off, off offset:164 ; 4-byte Folded Reload
	v_add_f16_e32 v11, v13, v11
	v_add_f16_e32 v13, v20, v23
	;; [unrolled: 1-line block ×4, first 2 shown]
	v_mul_f16_e32 v29, 0xb93d, v113
	v_add_f16_e32 v8, v10, v8
	v_add_f16_e32 v11, v13, v11
	;; [unrolled: 1-line block ×5, first 2 shown]
	v_mul_f16_e32 v30, 0xbbad, v119
	v_perm_b32 v15, v231, v97, 0x5040100
	v_add_f16_e32 v11, v13, v11
	scratch_load_b32 v13, off, off offset:160 ; 4-byte Folded Reload
	v_add_f16_e32 v9, v9, v81
	v_add_f16_e32 v17, v24, v111
	v_perm_b32 v16, v233, v98, 0x5040100
	s_delay_alu instid0(VALU_DEP_3) | instskip(NEXT) | instid1(VALU_DEP_3)
	v_add_f16_e32 v9, v9, v82
	v_add_f16_e32 v12, v17, v85
	v_perm_b32 v17, v234, v230, 0x5040100
	s_delay_alu instid0(VALU_DEP_3) | instskip(NEXT) | instid1(VALU_DEP_3)
	v_add_f16_e32 v9, v9, v83
	v_add_f16_e32 v12, v12, v109
	s_delay_alu instid0(VALU_DEP_2) | instskip(NEXT) | instid1(VALU_DEP_2)
	v_add_f16_e32 v9, v9, v77
	v_add_f16_e32 v10, v12, v79
	v_sub_f16_e32 v12, v29, v18
	s_delay_alu instid0(VALU_DEP_3) | instskip(NEXT) | instid1(VALU_DEP_3)
	v_add_f16_e32 v9, v9, v78
	v_add_f16_e32 v10, v10, v86
	s_delay_alu instid0(VALU_DEP_3) | instskip(SKIP_1) | instid1(VALU_DEP_4)
	v_add_f16_e32 v8, v12, v8
	v_sub_f16_e32 v12, v30, v21
	v_add_f16_e32 v9, v9, v42
	s_delay_alu instid0(VALU_DEP_4) | instskip(NEXT) | instid1(VALU_DEP_3)
	v_add_f16_e32 v10, v10, v43
	v_add_f16_e32 v8, v12, v8
	s_delay_alu instid0(VALU_DEP_3) | instskip(NEXT) | instid1(VALU_DEP_3)
	v_add_f16_e32 v9, v9, v107
	v_add_f16_e32 v10, v10, v108
	s_delay_alu instid0(VALU_DEP_3) | instskip(SKIP_1) | instid1(VALU_DEP_3)
	v_pack_b32_f16 v8, v8, v11
	v_perm_b32 v11, v229, v92, 0x5040100
	v_pack_b32_f16 v9, v9, v10
	v_perm_b32 v10, v238, v91, 0x5040100
	s_wait_loadcnt 0x1
	v_and_b32_e32 v14, 0xffff, v14
	s_delay_alu instid0(VALU_DEP_1) | instskip(SKIP_2) | instid1(VALU_DEP_2)
	v_mul_u32_u24_e32 v12, 0x4d, v14
	v_perm_b32 v14, v232, v96, 0x5040100
	s_wait_loadcnt 0x0
	v_add_lshl_u32 v12, v12, v13, 2
	v_perm_b32 v13, v228, v95, 0x5040100
	ds_store_2addr_b32 v12, v9, v8 offset1:7
	v_perm_b32 v8, v236, v93, 0x5040100
	v_perm_b32 v9, v237, v94, 0x5040100
	ds_store_2addr_b32 v12, v8, v9 offset0:14 offset1:21
	ds_store_2addr_b32 v12, v10, v11 offset0:28 offset1:35
	;; [unrolled: 1-line block ×4, first 2 shown]
	ds_store_b32 v12, v17 offset:280
.LBB0_5:
	s_wait_alu 0xfffe
	s_or_b32 exec_lo, exec_lo, s0
	v_lshlrev_b32_e32 v19, 4, v198
	global_wb scope:SCOPE_SE
	s_wait_dscnt 0x0
	s_barrier_signal -1
	s_barrier_wait -1
	global_inv scope:SCOPE_SE
	global_load_b128 v[8:11], v19, s[10:11] offset:280
	v_add_co_u32 v12, s0, 0xffffffea, v198
	s_wait_alu 0xf1ff
	v_add_co_ci_u32_e64 v13, null, 0, -1, s0
	v_cmp_gt_u16_e64 s0, 22, v198
	v_add_nc_u32_e32 v119, 0x400, v139
	v_add_nc_u32_e32 v121, 0xc00, v139
	;; [unrolled: 1-line block ×4, first 2 shown]
	s_wait_alu 0xf1ff
	v_cndmask_b32_e64 v16, v12, v72, s0
	v_cndmask_b32_e64 v17, v13, v68, s0
	ds_load_2addr_b32 v[12:13], v119 offset0:74 offset1:129
	ds_load_2addr_b32 v[77:78], v121 offset0:2 offset1:57
	;; [unrolled: 1-line block ×4, first 2 shown]
	ds_load_2addr_b32 v[81:82], v139 offset1:55
	v_lshlrev_b64_e32 v[17:18], 4, v[16:17]
	v_add_co_u32 v124, null, 0x14a, v198
	v_add_nc_u32_e32 v252, 0x800, v139
	v_add_nc_u32_e32 v131, 0x1400, v139
	;; [unrolled: 1-line block ×3, first 2 shown]
	v_add_co_u32 v17, s0, s10, v17
	s_wait_alu 0xf1ff
	v_add_co_ci_u32_e64 v18, s0, s11, v18, s0
	v_cmp_lt_u16_e64 s0, 21, v198
	v_add_nc_u32_e32 v123, 0xe00, v139
	v_add_nc_u32_e32 v122, 0x1a00, v139
	global_load_b128 v[28:31], v[17:18], off offset:280
	s_wait_alu 0xf1ff
	v_cndmask_b32_e64 v20, 0, 0x181, s0
	s_wait_dscnt 0x3
	v_lshrrev_b32_e32 v17, 16, v77
	s_wait_dscnt 0x2
	v_lshrrev_b32_e32 v18, 16, v15
	s_wait_dscnt 0x0
	v_lshrrev_b32_e32 v142, 16, v81
	v_add_lshl_u32 v226, v16, v20, 2
	v_lshrrev_b32_e32 v16, 16, v13
	s_wait_loadcnt 0x1
	v_lshrrev_b32_e32 v21, 16, v9
	v_lshrrev_b32_e32 v20, 16, v10
	;; [unrolled: 1-line block ×3, first 2 shown]
	s_delay_alu instid0(VALU_DEP_3) | instskip(NEXT) | instid1(VALU_DEP_3)
	v_mul_f16_e32 v113, v77, v21
	v_mul_f16_e64 v134, v15, v20
	s_delay_alu instid0(VALU_DEP_3) | instskip(NEXT) | instid1(VALU_DEP_3)
	v_mul_f16_e32 v87, v13, v22
	v_fmac_f16_e32 v113, v17, v9
	v_mul_f16_e32 v17, v17, v21
	v_lshrrev_b32_e32 v21, 16, v11
	v_fmac_f16_e64 v134, v18, v10
	v_mul_f16_e32 v18, v18, v20
	v_lshrrev_b32_e32 v20, 16, v79
	v_fmac_f16_e32 v87, v16, v8
	v_mul_f16_e64 v135, v79, v21
	v_mul_f16_e32 v16, v16, v22
	v_fma_f16 v137, v77, v9, -v17
	v_fma_f16 v138, v15, v10, -v18
	v_sub_f16_e64 v149, v113, v134
	v_fmac_f16_e64 v135, v20, v11
	v_mul_f16_e32 v20, v20, v21
	v_fma_f16 v136, v13, v8, -v16
	v_sub_f16_e64 v151, v137, v138
	v_add_co_u32 v77, null, 0x113, v198
	s_delay_alu instid0(VALU_DEP_4) | instskip(NEXT) | instid1(VALU_DEP_4)
	v_fma_f16 v79, v79, v11, -v20
	v_sub_f16_e64 v13, v136, v137
	v_sub_f16_e64 v147, v87, v135
	s_delay_alu instid0(VALU_DEP_4) | instskip(SKIP_3) | instid1(VALU_DEP_4)
	v_and_b32_e32 v16, 0xffff, v77
	v_and_b32_e32 v17, 0xffff, v124
	v_sub_f16_e64 v15, v79, v138
	v_sub_f16_e64 v150, v136, v79
	v_mul_u32_u24_e32 v16, 0x1a99, v16
	s_delay_alu instid0(VALU_DEP_4) | instskip(NEXT) | instid1(VALU_DEP_4)
	v_mul_u32_u24_e32 v17, 0x1a99, v17
	v_add_f16_e64 v140, v13, v15
	v_sub_f16_e32 v13, v87, v113
	v_sub_f16_e64 v15, v135, v134
	s_delay_alu instid0(VALU_DEP_1) | instskip(SKIP_2) | instid1(VALU_DEP_2)
	v_add_f16_e64 v141, v13, v15
	v_add_f16_e64 v13, v81, v136
	;; [unrolled: 1-line block ×4, first 2 shown]
	s_delay_alu instid0(VALU_DEP_2) | instskip(NEXT) | instid1(VALU_DEP_2)
	v_add_f16_e32 v15, v15, v113
	v_add_f16_e64 v13, v13, v138
	s_delay_alu instid0(VALU_DEP_2) | instskip(NEXT) | instid1(VALU_DEP_2)
	v_add_f16_e64 v15, v15, v134
	v_add_f16_e32 v13, v13, v79
	s_delay_alu instid0(VALU_DEP_2) | instskip(NEXT) | instid1(VALU_DEP_1)
	v_add_f16_e64 v15, v15, v135
	v_pack_b32_f16 v143, v13, v15
	v_add_f16_e64 v13, v137, v138
	s_delay_alu instid0(VALU_DEP_1)
	v_fma_f16 v145, -0.5, v13, v81
	v_add_f16_e64 v13, v113, v134
	v_sub_f16_e32 v113, v113, v87
	v_add_f16_e64 v87, v87, v135
	v_sub_f16_e64 v134, v134, v135
	v_sub_f16_e64 v135, v137, v136
	v_fma_f16 v146, -0.5, v13, v142
	v_fma_f16 v13, 0x3b9c, v147, v145
	v_sub_f16_e64 v137, v138, v79
	v_add_f16_e64 v79, v136, v79
	v_fmac_f16_e64 v142, -0.5, v87
	v_fma_f16 v15, 0xbb9c, v150, v146
	v_fmac_f16_e64 v13, 0x38b4, v149
	v_add_f16_e64 v87, v113, v134
	v_fma_f16 v79, -0.5, v79, v81
	v_fma_f16 v113, 0x3b9c, v151, v142
	v_fmac_f16_e64 v15, 0xb8b4, v151
	v_fmac_f16_e64 v13, 0x34f2, v140
	;; [unrolled: 1-line block ×3, first 2 shown]
	v_fma_f16 v81, 0xbb9c, v149, v79
	v_fmac_f16_e64 v79, 0x3b9c, v149
	v_fmac_f16_e64 v15, 0x34f2, v141
	v_add_f16_e64 v135, v135, v137
	v_fmac_f16_e64 v113, 0xb8b4, v150
	v_fmac_f16_e64 v81, 0x38b4, v147
	;; [unrolled: 1-line block ×3, first 2 shown]
	v_pack_b32_f16 v144, v13, v15
	v_mul_lo_u16 v13, 0xd5, v73
	v_mul_lo_u16 v15, 0xd5, v74
	v_lshrrev_b32_e32 v74, 19, v16
	ds_load_b32 v73, v139 offset:7480
	v_fmac_f16_e64 v142, 0x38b4, v150
	v_lshrrev_b16 v152, 14, v13
	v_lshrrev_b16 v13, 14, v15
	v_and_b32_e32 v15, 0xffff, v76
	v_fmac_f16_e64 v81, 0x34f2, v135
	v_fmac_f16_e64 v79, 0x34f2, v135
	v_mul_lo_u16 v18, 0x4d, v152
	v_mul_lo_u16 v13, 0x4d, v13
	v_mul_u32_u24_e32 v15, 0x1a99, v15
	v_fmac_f16_e32 v113, 0x34f2, v87
	v_fmac_f16_e64 v142, 0x34f2, v87
	v_sub_nc_u16 v18, v71, v18
	v_sub_nc_u16 v13, v70, v13
	v_lshrrev_b32_e32 v156, 19, v15
	v_lshrrev_b32_e32 v15, 19, v17
	v_pack_b32_f16 v81, v81, v113
	v_and_b32_e32 v155, 0xff, v18
	v_and_b32_e32 v164, 0xff, v13
	v_mul_lo_u16 v13, 0x4d, v156
	v_pack_b32_f16 v79, v79, v142
	s_wait_loadcnt 0x0
	v_lshrrev_b32_e32 v87, 16, v29
	v_lshlrev_b32_e32 v38, 4, v155
	v_lshlrev_b32_e32 v39, 4, v164
	v_sub_nc_u16 v166, v76, v13
	v_mul_lo_u16 v13, 0x4d, v15
	v_mul_lo_u16 v15, 0x4d, v74
	v_lshrrev_b32_e32 v134, 16, v31
	v_lshrrev_b32_e32 v136, 16, v28
	v_fmac_f16_e64 v145, 0xbb9c, v147
	v_sub_nc_u16 v13, v124, v13
	v_sub_nc_u16 v75, v77, v15
	v_lshlrev_b16 v15, 4, v166
	v_fmac_f16_e64 v146, 0x3b9c, v150
	v_fmac_f16_e64 v145, 0xb8b4, v149
	v_lshlrev_b16 v17, 4, v13
	v_lshlrev_b16 v16, 4, v75
	v_and_b32_e32 v15, 0xffff, v15
	v_fmac_f16_e64 v146, 0x38b4, v151
	v_fmac_f16_e64 v145, 0x34f2, v140
	v_and_b32_e32 v17, 0xffff, v17
	v_and_b32_e32 v16, 0xffff, v16
	v_add_co_u32 v20, s0, s10, v15
	s_wait_alu 0xf1ff
	v_add_co_ci_u32_e64 v21, null, s11, 0, s0
	s_delay_alu instid0(VALU_DEP_3)
	v_add_co_u32 v22, s0, s10, v16
	s_wait_alu 0xf1ff
	v_add_co_ci_u32_e64 v23, null, s11, 0, s0
	v_add_co_u32 v36, s0, s10, v17
	s_wait_alu 0xf1ff
	v_add_co_ci_u32_e64 v37, null, s11, 0, s0
	ds_load_2addr_b32 v[83:84], v139 offset0:110 offset1:165
	ds_load_2addr_b32 v[85:86], v119 offset0:184 offset1:239
	;; [unrolled: 1-line block ×12, first 2 shown]
	s_clause 0x4
	global_load_b128 v[32:35], v[20:21], off offset:280
	global_load_b128 v[24:27], v[22:23], off offset:280
	;; [unrolled: 1-line block ×3, first 2 shown]
	global_load_b128 v[40:43], v38, s[10:11] offset:280
	global_load_b128 v[36:39], v39, s[10:11] offset:280
	global_wb scope:SCOPE_SE
	s_wait_loadcnt_dscnt 0x0
	s_barrier_signal -1
	s_barrier_wait -1
	global_inv scope:SCOPE_SE
	ds_store_2addr_b32 v139, v81, v79 offset0:154 offset1:231
	v_lshrrev_b32_e32 v79, 16, v78
	ds_store_2addr_b32 v139, v143, v144 offset1:77
	v_fmac_f16_e64 v146, 0x34f2, v141
	v_mul_f16_e64 v135, v85, v136
	v_mad_u16 v74, 0x181, v74, v75
	v_mul_f16_e32 v81, v79, v87
	v_and_b32_e32 v13, 0xffff, v13
	v_lshlrev_b32_e32 v76, 4, v76
	v_lshlrev_b32_e32 v77, 4, v77
	v_and_b32_e32 v74, 0xffff, v74
	v_fma_f16 v81, v78, v29, -v81
	v_mul_f16_e32 v78, v78, v87
	v_lshrrev_b32_e32 v87, 16, v80
	s_add_nc_u64 s[0:1], s[8:9], 0x1e14
	v_lshlrev_b32_e32 v240, 2, v74
	s_delay_alu instid0(VALU_DEP_3) | instskip(NEXT) | instid1(VALU_DEP_3)
	v_fmac_f16_e32 v78, v79, v29
	v_mul_f16_e64 v113, v87, v134
	v_lshrrev_b32_e32 v79, 16, v107
	s_delay_alu instid0(VALU_DEP_2) | instskip(SKIP_2) | instid1(VALU_DEP_2)
	v_fma_f16 v113, v80, v31, -v113
	v_mul_f16_e64 v80, v80, v134
	v_lshrrev_b32_e32 v134, 16, v30
	v_fmac_f16_e32 v80, v87, v31
	s_delay_alu instid0(VALU_DEP_2) | instskip(NEXT) | instid1(VALU_DEP_1)
	v_mul_f16_e64 v87, v107, v134
	v_fmac_f16_e32 v87, v79, v30
	v_mul_f16_e64 v79, v79, v134
	v_lshrrev_b32_e32 v134, 16, v85
	s_delay_alu instid0(VALU_DEP_3) | instskip(NEXT) | instid1(VALU_DEP_3)
	v_sub_f16_e64 v159, v87, v80
	v_fma_f16 v79, v107, v30, -v79
	s_delay_alu instid0(VALU_DEP_3) | instskip(SKIP_2) | instid1(VALU_DEP_4)
	v_fmac_f16_e64 v135, v134, v28
	v_mul_f16_e64 v134, v134, v136
	v_lshrrev_b32_e32 v136, 16, v82
	v_add_f16_e32 v107, v81, v79
	v_sub_f16_e64 v138, v79, v113
	s_delay_alu instid0(VALU_DEP_4)
	v_fma_f16 v85, v85, v28, -v134
	v_add_f16_e64 v143, v135, v80
	v_add_f16_e64 v153, v136, v135
	v_fma_f16 v107, -0.5, v107, v82
	v_sub_f16_e64 v163, v81, v79
	v_add_f16_e64 v134, v85, v113
	v_add_f16_e64 v137, v82, v85
	v_sub_f16_e64 v169, v135, v80
	v_sub_f16_e64 v171, v85, v113
	s_delay_alu instid0(VALU_DEP_4) | instskip(SKIP_3) | instid1(VALU_DEP_3)
	v_fmac_f16_e64 v82, -0.5, v134
	v_sub_f16_e64 v134, v81, v85
	v_sub_f16_e32 v85, v85, v81
	v_add_f16_e64 v81, v137, v81
	v_add_f16_e64 v134, v134, v138
	;; [unrolled: 1-line block ×3, first 2 shown]
	s_delay_alu instid0(VALU_DEP_3) | instskip(SKIP_1) | instid1(VALU_DEP_3)
	v_add_f16_e32 v81, v81, v79
	v_sub_f16_e32 v79, v113, v79
	v_fma_f16 v138, -0.5, v138, v136
	v_fmac_f16_e64 v136, -0.5, v143
	v_sub_f16_e64 v143, v78, v135
	v_sub_f16_e64 v135, v135, v78
	v_add_f16_e32 v81, v81, v113
	v_add_f16_e32 v79, v85, v79
	v_fma_f16 v168, 0x3b9c, v163, v136
	v_add_f16_e64 v143, v143, v159
	v_sub_f16_e64 v159, v78, v87
	v_add_f16_e64 v78, v153, v78
	v_fmac_f16_e64 v136, 0xbb9c, v163
	v_fmac_f16_e64 v168, 0xb8b4, v171
	v_pack_b32_f16 v85, v145, v146
	v_fma_f16 v161, 0xbb9c, v159, v82
	v_add_f16_e32 v78, v78, v87
	v_sub_f16_e32 v87, v80, v87
	v_fmac_f16_e64 v82, 0x3b9c, v159
	v_fmac_f16_e64 v136, 0x38b4, v171
	;; [unrolled: 1-line block ×3, first 2 shown]
	v_add_f16_e32 v78, v78, v80
	v_add_f16_e64 v80, v135, v87
	v_fma_f16 v87, 0xbb9c, v171, v138
	v_fmac_f16_e64 v82, 0xb8b4, v169
	v_fmac_f16_e64 v136, 0x34f2, v143
	v_pack_b32_f16 v78, v81, v78
	v_fma_f16 v81, 0x3b9c, v169, v107
	v_fmac_f16_e64 v87, 0xb8b4, v163
	v_fmac_f16_e64 v82, 0x34f2, v134
	;; [unrolled: 1-line block ×5, first 2 shown]
	v_fmac_f16_e32 v87, 0x34f2, v80
	v_pack_b32_f16 v82, v82, v136
	v_fmac_f16_e64 v107, 0xbb9c, v169
	v_fmac_f16_e64 v138, 0x3b9c, v171
	v_fmac_f16_e32 v81, 0x34f2, v79
	s_delay_alu instid0(VALU_DEP_3) | instskip(NEXT) | instid1(VALU_DEP_3)
	v_fmac_f16_e64 v107, 0xb8b4, v159
	v_fmac_f16_e64 v138, 0x38b4, v163
	s_delay_alu instid0(VALU_DEP_3)
	v_pack_b32_f16 v81, v81, v87
	ds_store_b32 v139, v85 offset:1232
	ds_store_2addr_b32 v226, v78, v81 offset1:77
	v_pack_b32_f16 v78, v161, v168
	v_lshrrev_b32_e32 v85, 16, v108
	v_fmac_f16_e32 v107, 0x34f2, v79
	v_fmac_f16_e64 v138, 0x34f2, v80
	ds_store_2addr_b32 v226, v78, v82 offset0:154 offset1:231
	v_lshrrev_b32_e32 v78, 16, v86
	v_lshrrev_b32_e32 v212, 16, v32
	;; [unrolled: 1-line block ×9, first 2 shown]
	v_mul_f16_e32 v81, v78, v82
	v_mul_f16_e32 v82, v86, v82
	v_mul_f16_e64 v113, v111, v134
	v_lshrrev_b32_e32 v183, 16, v27
	v_lshrrev_b32_e32 v190, 16, v24
	v_fma_f16 v81, v86, v40, -v81
	v_mul_f16_e32 v86, v85, v87
	v_mul_f16_e32 v87, v108, v87
	v_fmac_f16_e32 v82, v78, v40
	v_lshrrev_b32_e32 v78, 16, v109
	v_lshrrev_b32_e32 v187, 16, v26
	v_fma_f16 v86, v108, v42, -v86
	v_and_b32_e32 v108, 0xffff, v152
	v_fmac_f16_e32 v87, v85, v42
	v_lshrrev_b32_e32 v195, 16, v20
	v_lshrrev_b32_e32 v199, 16, v21
	;; [unrolled: 1-line block ×3, first 2 shown]
	v_mul_u32_u24_e32 v108, 0x181, v108
	v_lshrrev_b32_e32 v193, 16, v23
	s_delay_alu instid0(VALU_DEP_2) | instskip(SKIP_1) | instid1(VALU_DEP_1)
	v_add_lshl_u32 v227, v108, v155, 2
	v_lshrrev_b32_e32 v108, 16, v41
	v_mul_f16_e32 v85, v109, v108
	s_delay_alu instid0(VALU_DEP_1) | instskip(SKIP_2) | instid1(VALU_DEP_3)
	v_fmac_f16_e32 v85, v78, v41
	v_mul_f16_e32 v78, v78, v108
	v_lshrrev_b32_e32 v108, 16, v111
	v_sub_f16_e32 v79, v82, v85
	s_delay_alu instid0(VALU_DEP_3) | instskip(NEXT) | instid1(VALU_DEP_3)
	v_fma_f16 v78, v109, v41, -v78
	v_fmac_f16_e32 v113, v108, v43
	v_mul_f16_e64 v108, v108, v134
	v_add_f16_e64 v135, v85, v87
	v_sub_f16_e64 v137, v85, v87
	v_sub_f16_e32 v109, v81, v78
	v_sub_f16_e32 v80, v113, v87
	v_fma_f16 v108, v111, v43, -v108
	v_sub_f16_e64 v136, v82, v113
	v_sub_f16_e64 v141, v78, v86
	s_delay_alu instid0(VALU_DEP_4) | instskip(NEXT) | instid1(VALU_DEP_4)
	v_add_f16_e32 v79, v79, v80
	v_sub_f16_e32 v111, v108, v86
	v_pack_b32_f16 v80, v107, v138
	v_add_f16_e32 v107, v83, v81
	v_sub_f16_e64 v140, v81, v108
	s_delay_alu instid0(VALU_DEP_4) | instskip(SKIP_1) | instid1(VALU_DEP_4)
	v_add_f16_e32 v109, v109, v111
	v_lshrrev_b32_e32 v111, 16, v83
	v_add_f16_e32 v107, v107, v78
	s_delay_alu instid0(VALU_DEP_2) | instskip(NEXT) | instid1(VALU_DEP_2)
	v_add_f16_e64 v134, v111, v82
	v_add_f16_e32 v107, v107, v86
	v_fma_f16 v135, -0.5, v135, v111
	s_delay_alu instid0(VALU_DEP_3) | instskip(NEXT) | instid1(VALU_DEP_3)
	v_add_f16_e64 v134, v134, v85
	v_add_f16_e32 v107, v107, v108
	s_delay_alu instid0(VALU_DEP_3) | instskip(SKIP_1) | instid1(VALU_DEP_4)
	v_fma_f16 v143, 0xbb9c, v140, v135
	v_fmac_f16_e64 v135, 0x3b9c, v140
	v_add_f16_e64 v134, v134, v87
	s_delay_alu instid0(VALU_DEP_3) | instskip(NEXT) | instid1(VALU_DEP_3)
	v_fmac_f16_e64 v143, 0xb8b4, v141
	v_fmac_f16_e64 v135, 0x38b4, v141
	s_delay_alu instid0(VALU_DEP_3) | instskip(NEXT) | instid1(VALU_DEP_3)
	v_add_f16_e64 v134, v134, v113
	v_fmac_f16_e64 v143, 0x34f2, v79
	s_delay_alu instid0(VALU_DEP_3) | instskip(NEXT) | instid1(VALU_DEP_3)
	v_fmac_f16_e64 v135, 0x34f2, v79
	v_pack_b32_f16 v107, v107, v134
	v_add_f16_e64 v134, v78, v86
	v_sub_f16_e32 v78, v78, v81
	v_add_f16_e32 v81, v81, v108
	v_sub_f16_e32 v86, v86, v108
	s_delay_alu instid0(VALU_DEP_4) | instskip(NEXT) | instid1(VALU_DEP_3)
	v_fma_f16 v134, -0.5, v134, v83
	v_fma_f16 v81, -0.5, v81, v83
	s_delay_alu instid0(VALU_DEP_3) | instskip(SKIP_1) | instid1(VALU_DEP_4)
	v_add_f16_e32 v78, v78, v86
	v_lshrrev_b32_e32 v86, 16, v38
	v_fma_f16 v138, 0x3b9c, v136, v134
	v_fmac_f16_e64 v134, 0xbb9c, v136
	s_delay_alu instid0(VALU_DEP_2) | instskip(NEXT) | instid1(VALU_DEP_2)
	v_fmac_f16_e64 v138, 0x38b4, v137
	v_fmac_f16_e64 v134, 0xb8b4, v137
	s_delay_alu instid0(VALU_DEP_2) | instskip(NEXT) | instid1(VALU_DEP_2)
	v_fmac_f16_e64 v138, 0x34f2, v109
	v_fmac_f16_e64 v134, 0x34f2, v109
	v_lshlrev_b32_e32 v109, 2, v164
	s_delay_alu instid0(VALU_DEP_3)
	v_pack_b32_f16 v138, v138, v143
	ds_store_b32 v226, v80 offset:1232
	ds_store_2addr_b32 v227, v107, v138 offset1:77
	v_sub_f16_e32 v80, v85, v82
	v_add_f16_e32 v82, v82, v113
	v_sub_f16_e32 v85, v87, v113
	v_lshrrev_b32_e32 v107, 16, v36
	scratch_store_b32 off, v109, off offset:168 ; 4-byte Folded Spill
	v_fmac_f16_e32 v111, -0.5, v82
	v_fma_f16 v82, 0xbb9c, v137, v81
	v_fmac_f16_e64 v81, 0x3b9c, v137
	v_add_f16_e32 v80, v80, v85
	v_lshrrev_b32_e32 v85, 16, v39
	v_mul_f16_e32 v87, v125, v107
	v_fmac_f16_e64 v82, 0x38b4, v136
	v_fmac_f16_e64 v81, 0xb8b4, v136
	s_delay_alu instid0(VALU_DEP_2) | instskip(NEXT) | instid1(VALU_DEP_2)
	v_fmac_f16_e32 v82, 0x34f2, v78
	v_fmac_f16_e32 v81, 0x34f2, v78
	v_fma_f16 v78, 0x3b9c, v141, v111
	v_fmac_f16_e64 v111, 0xbb9c, v141
	s_delay_alu instid0(VALU_DEP_2) | instskip(NEXT) | instid1(VALU_DEP_2)
	v_fmac_f16_e64 v78, 0xb8b4, v140
	v_fmac_f16_e64 v111, 0x38b4, v140
	s_delay_alu instid0(VALU_DEP_2) | instskip(NEXT) | instid1(VALU_DEP_2)
	v_fmac_f16_e32 v78, 0x34f2, v80
	v_fmac_f16_e32 v111, 0x34f2, v80
	s_delay_alu instid0(VALU_DEP_2) | instskip(NEXT) | instid1(VALU_DEP_2)
	v_pack_b32_f16 v78, v82, v78
	v_pack_b32_f16 v80, v81, v111
	v_lshrrev_b32_e32 v81, 16, v37
	v_lshrrev_b32_e32 v82, 16, v112
	ds_store_2addr_b32 v227, v78, v80 offset0:154 offset1:231
	v_lshrrev_b32_e32 v78, 16, v110
	v_mul_f16_e32 v83, v82, v85
	v_mul_f16_e32 v85, v112, v85
	s_delay_alu instid0(VALU_DEP_3) | instskip(SKIP_1) | instid1(VALU_DEP_3)
	v_mul_f16_e32 v80, v78, v81
	v_mul_f16_e32 v81, v110, v81
	v_fmac_f16_e32 v85, v82, v39
	v_mul_f16_e32 v82, v127, v86
	v_fma_f16 v83, v112, v39, -v83
	v_fma_f16 v80, v110, v37, -v80
	v_fmac_f16_e32 v81, v78, v37
	v_lshrrev_b32_e32 v78, 16, v127
	v_lshrrev_b32_e32 v110, 16, v84
	s_delay_alu instid0(VALU_DEP_2) | instskip(SKIP_2) | instid1(VALU_DEP_2)
	v_fmac_f16_e32 v82, v78, v38
	v_mul_f16_e32 v78, v78, v86
	v_lshrrev_b32_e32 v86, 16, v125
	v_fma_f16 v78, v127, v38, -v78
	s_delay_alu instid0(VALU_DEP_2) | instskip(SKIP_2) | instid1(VALU_DEP_4)
	v_fmac_f16_e32 v87, v86, v36
	v_mul_f16_e32 v86, v86, v107
	v_sub_f16_e32 v127, v82, v85
	v_add_f16_e32 v107, v80, v78
	v_sub_f16_e32 v112, v78, v83
	s_delay_alu instid0(VALU_DEP_4)
	v_fma_f16 v86, v125, v36, -v86
	v_add_f16_e32 v113, v87, v85
	v_add_f16_e32 v125, v110, v87
	v_fma_f16 v107, -0.5, v107, v84
	v_sub_f16_e64 v145, v80, v78
	v_add_f16_e32 v108, v86, v83
	v_add_f16_e32 v111, v84, v86
	v_sub_f16_e64 v149, v86, v83
	v_sub_f16_e64 v143, v87, v85
	s_delay_alu instid0(VALU_DEP_4) | instskip(SKIP_4) | instid1(VALU_DEP_4)
	v_fmac_f16_e32 v84, -0.5, v108
	v_sub_f16_e32 v108, v80, v86
	v_add_f16_e32 v79, v111, v80
	v_sub_f16_e32 v80, v86, v80
	v_pack_b32_f16 v86, v134, v135
	v_add_f16_e32 v108, v108, v112
	v_add_f16_e32 v112, v81, v82
	;; [unrolled: 1-line block ×3, first 2 shown]
	v_sub_f16_e32 v78, v83, v78
	ds_store_b32 v227, v86 offset:1232
	v_fma_f16 v112, -0.5, v112, v110
	v_fmac_f16_e32 v110, -0.5, v113
	v_sub_f16_e32 v113, v81, v87
	v_add_f16_e32 v79, v79, v83
	v_add_f16_e32 v83, v125, v81
	;; [unrolled: 1-line block ×3, first 2 shown]
	v_fma_f16 v147, 0x3b9c, v145, v110
	v_add_f16_e32 v113, v113, v127
	v_sub_f16_e32 v127, v81, v82
	v_sub_f16_e32 v81, v87, v81
	v_add_f16_e32 v83, v83, v82
	v_sub_f16_e32 v82, v85, v82
	v_fmac_f16_e64 v110, 0xbb9c, v145
	v_fma_f16 v138, 0xbb9c, v127, v84
	v_fmac_f16_e32 v84, 0x3b9c, v127
	v_add_f16_e32 v83, v83, v85
	v_add_f16_e32 v80, v81, v82
	v_fma_f16 v81, 0x3b9c, v143, v107
	v_fma_f16 v82, 0xbb9c, v149, v112
	v_fmac_f16_e64 v84, 0xb8b4, v143
	v_fmac_f16_e64 v110, 0x38b4, v149
	;; [unrolled: 1-line block ×3, first 2 shown]
	v_fmac_f16_e32 v81, 0x38b4, v127
	v_fmac_f16_e64 v82, 0xb8b4, v145
	v_fmac_f16_e64 v147, 0xb8b4, v149
	v_fmac_f16_e32 v84, 0x34f2, v108
	v_fmac_f16_e32 v110, 0x34f2, v113
	;; [unrolled: 1-line block ×4, first 2 shown]
	v_pack_b32_f16 v79, v79, v83
	v_fmac_f16_e64 v138, 0x34f2, v108
	v_fmac_f16_e64 v147, 0x34f2, v113
	v_pack_b32_f16 v84, v84, v110
	v_pack_b32_f16 v81, v81, v82
	v_add_nc_u32_e32 v82, 0xc00, v109
	v_fmac_f16_e64 v107, 0xbb9c, v143
	v_fmac_f16_e64 v112, 0x3b9c, v149
	v_lshrrev_b32_e32 v83, 16, v128
	v_mul_f16_e64 v85, v128, v171
	ds_store_2addr_b32 v82, v79, v81 offset0:2 offset1:79
	v_pack_b32_f16 v79, v138, v147
	v_fmac_f16_e32 v107, 0xb8b4, v127
	v_fmac_f16_e64 v112, 0x38b4, v145
	v_fmac_f16_e32 v85, v83, v34
	ds_store_2addr_b32 v82, v79, v84 offset0:156 offset1:233
	v_lshrrev_b32_e32 v79, 16, v126
	v_mul_f16_e64 v82, v126, v212
	v_mul_f16_e64 v84, v83, v171
	v_fmac_f16_e32 v107, 0x34f2, v78
	v_fmac_f16_e32 v112, 0x34f2, v80
	v_mul_f16_e64 v81, v79, v212
	v_fmac_f16_e32 v82, v79, v32
	v_lshrrev_b32_e32 v78, 16, v129
	v_mul_f16_e64 v79, v129, v178
	v_lshrrev_b32_e32 v80, 16, v132
	v_mul_f16_e64 v83, v132, v176
	v_fma_f16 v81, v126, v32, -v81
	v_fma_f16 v84, v128, v34, -v84
	v_fmac_f16_e32 v79, v78, v33
	v_mul_f16_e64 v78, v78, v178
	v_fmac_f16_e32 v83, v80, v35
	v_mul_f16_e64 v80, v80, v176
	s_delay_alu instid0(VALU_DEP_4) | instskip(NEXT) | instid1(VALU_DEP_4)
	v_sub_f16_e32 v113, v79, v85
	v_fma_f16 v78, v129, v33, -v78
	s_delay_alu instid0(VALU_DEP_4) | instskip(NEXT) | instid1(VALU_DEP_4)
	v_sub_f16_e32 v111, v82, v83
	v_fma_f16 v80, v132, v35, -v80
	v_add_f16_e32 v125, v79, v85
	v_sub_f16_e32 v108, v83, v85
	v_sub_f16_e32 v86, v81, v78
	v_sub_f16_e64 v128, v78, v84
	v_sub_f16_e32 v87, v80, v84
	v_sub_f16_e32 v126, v81, v80
	s_delay_alu instid0(VALU_DEP_2)
	v_add_f16_e32 v86, v86, v87
	v_pack_b32_f16 v87, v107, v112
	v_sub_f16_e32 v107, v82, v79
	ds_store_b32 v109, v87 offset:4312
	v_lshrrev_b32_e32 v109, 16, v68
	v_add_f16_e32 v87, v68, v81
	v_add_f16_e32 v107, v107, v108
	v_mad_u16 v108, 0x181, v156, v166
	s_delay_alu instid0(VALU_DEP_4) | instskip(NEXT) | instid1(VALU_DEP_4)
	v_add_f16_e32 v110, v109, v82
	v_add_f16_e32 v87, v87, v78
	v_fma_f16 v125, -0.5, v125, v109
	s_delay_alu instid0(VALU_DEP_4) | instskip(NEXT) | instid1(VALU_DEP_4)
	v_and_b32_e32 v108, 0xffff, v108
	v_add_f16_e32 v110, v110, v79
	s_delay_alu instid0(VALU_DEP_4) | instskip(SKIP_1) | instid1(VALU_DEP_4)
	v_add_f16_e32 v87, v87, v84
	v_sub_f16_e32 v79, v79, v82
	v_lshlrev_b32_e32 v239, 2, v108
	v_fmamk_f16 v127, v126, 0xbb9c, v125
	v_add_f16_e32 v110, v110, v85
	v_add_f16_e32 v87, v87, v80
	v_fmac_f16_e32 v125, 0x3b9c, v126
	s_delay_alu instid0(VALU_DEP_4) | instskip(NEXT) | instid1(VALU_DEP_4)
	v_fmac_f16_e64 v127, 0xb8b4, v128
	v_add_f16_e32 v110, v110, v83
	s_delay_alu instid0(VALU_DEP_3) | instskip(NEXT) | instid1(VALU_DEP_3)
	v_fmac_f16_e64 v125, 0x38b4, v128
	v_fmac_f16_e32 v127, 0x34f2, v107
	s_delay_alu instid0(VALU_DEP_3)
	v_pack_b32_f16 v87, v87, v110
	v_add_f16_e32 v110, v78, v84
	v_sub_f16_e32 v84, v84, v80
	v_add_f16_e32 v80, v81, v80
	v_sub_f16_e32 v78, v78, v81
	v_add_f16_e32 v81, v82, v83
	v_fma_f16 v110, -0.5, v110, v68
	v_mul_f16_e64 v82, v133, v183
	v_fma_f16 v68, -0.5, v80, v68
	v_add_f16_e32 v78, v78, v84
	v_fmac_f16_e32 v109, -0.5, v81
	v_sub_f16_e32 v81, v85, v83
	v_lshrrev_b32_e32 v83, 16, v15
	v_fmamk_f16 v80, v113, 0xbb9c, v68
	v_fmac_f16_e32 v68, 0x3b9c, v113
	v_mul_f16_e64 v84, v15, v187
	v_fmamk_f16 v112, v111, 0x3b9c, v110
	v_fmac_f16_e32 v110, 0xbb9c, v111
	v_fmac_f16_e32 v80, 0x38b4, v111
	v_fmac_f16_e32 v68, 0xb8b4, v111
	v_fmac_f16_e32 v84, v83, v26
	v_mul_f16_e64 v83, v83, v187
	v_fmac_f16_e32 v112, 0x38b4, v113
	v_fmac_f16_e32 v80, 0x34f2, v78
	;; [unrolled: 1-line block ×3, first 2 shown]
	v_add_f16_e32 v78, v79, v81
	v_fma_f16 v79, 0x3b9c, v128, v109
	v_fmac_f16_e64 v109, 0xbb9c, v128
	v_fma_f16 v15, v15, v26, -v83
	v_fmac_f16_e32 v112, 0x34f2, v86
	v_fmac_f16_e32 v110, 0xb8b4, v113
	v_fmac_f16_e32 v79, 0xb8b4, v126
	v_fmac_f16_e32 v109, 0x38b4, v126
	v_fmac_f16_e32 v125, 0x34f2, v107
	v_pack_b32_f16 v112, v112, v127
	v_fmac_f16_e32 v110, 0x34f2, v86
	v_fmac_f16_e32 v79, 0x34f2, v78
	;; [unrolled: 1-line block ×3, first 2 shown]
	v_lshrrev_b32_e32 v86, 16, v69
	ds_store_2addr_b32 v239, v87, v112 offset1:77
	v_pack_b32_f16 v75, v110, v125
	v_pack_b32_f16 v78, v80, v79
	;; [unrolled: 1-line block ×3, first 2 shown]
	v_mul_f16_e64 v79, v130, v185
	v_lshrrev_b32_e32 v80, 16, v133
	ds_store_b32 v239, v75 offset:1232
	ds_store_2addr_b32 v239, v78, v68 offset0:154 offset1:231
	v_lshrrev_b32_e32 v68, 16, v130
	v_mul_f16_e64 v81, v80, v183
	v_fmac_f16_e32 v82, v80, v27
	v_mul_f16_e64 v80, v17, v190
	s_delay_alu instid0(VALU_DEP_4)
	v_mul_f16_e64 v78, v68, v185
	v_fmac_f16_e32 v79, v68, v25
	v_lshrrev_b32_e32 v68, 16, v17
	v_fma_f16 v81, v133, v27, -v81
	v_sub_f16_e32 v85, v82, v84
	v_fma_f16 v78, v130, v25, -v78
	v_add_f16_e32 v110, v79, v84
	v_fmac_f16_e32 v80, v68, v24
	v_mul_f16_e64 v68, v68, v190
	v_sub_f16_e32 v83, v81, v15
	v_sub_f16_e32 v113, v78, v15
	;; [unrolled: 1-line block ×3, first 2 shown]
	v_add_f16_e32 v87, v86, v80
	v_fma_f16 v17, v17, v24, -v68
	v_fma_f16 v110, -0.5, v110, v86
	v_sub_f16_e32 v75, v79, v80
	v_sub_f16_e32 v107, v80, v82
	v_add_f16_e32 v87, v87, v79
	v_sub_f16_e32 v68, v17, v78
	v_sub_f16_e32 v74, v78, v17
	;; [unrolled: 1-line block ×3, first 2 shown]
	s_delay_alu instid0(VALU_DEP_4) | instskip(NEXT) | instid1(VALU_DEP_4)
	v_add_f16_e32 v87, v87, v84
	v_add_f16_e32 v68, v68, v83
	v_sub_f16_e32 v83, v80, v79
	v_sub_f16_e32 v79, v84, v82
	v_fmamk_f16 v112, v111, 0xbb9c, v110
	v_add_f16_e32 v87, v87, v82
	v_fmac_f16_e32 v110, 0x3b9c, v111
	v_add_f16_e32 v83, v83, v85
	v_add_f16_e32 v85, v69, v17
	;; [unrolled: 1-line block ×3, first 2 shown]
	v_fmac_f16_e32 v112, 0xb8b4, v113
	v_fmac_f16_e32 v110, 0x38b4, v113
	s_delay_alu instid0(VALU_DEP_4) | instskip(NEXT) | instid1(VALU_DEP_3)
	v_add_f16_e32 v85, v85, v78
	v_fmac_f16_e32 v112, 0x34f2, v83
	s_delay_alu instid0(VALU_DEP_3) | instskip(NEXT) | instid1(VALU_DEP_3)
	v_fmac_f16_e32 v110, 0x34f2, v83
	v_add_f16_e32 v85, v85, v15
	s_delay_alu instid0(VALU_DEP_1) | instskip(NEXT) | instid1(VALU_DEP_1)
	v_add_f16_e32 v85, v85, v81
	v_pack_b32_f16 v85, v85, v87
	v_add_f16_e32 v87, v78, v15
	v_add_f16_e32 v78, v80, v82
	v_lshrrev_b32_e32 v80, 16, v14
	v_sub_f16_e32 v15, v15, v81
	v_lshrrev_b32_e32 v82, 16, v16
	v_fma_f16 v87, -0.5, v87, v69
	v_fmac_f16_e32 v86, -0.5, v78
	v_lshrrev_b32_e32 v78, 16, v18
	v_fmac_f16_e32 v69, -0.5, v17
	v_add_f16_e32 v17, v75, v79
	v_mul_f16_e64 v81, v80, v199
	v_fmamk_f16 v108, v107, 0x3b9c, v87
	v_mul_f16_e64 v79, v78, v195
	v_add_f16_e32 v15, v74, v15
	v_fmamk_f16 v74, v109, 0xbb9c, v69
	v_fma_f16 v81, v14, v21, -v81
	v_mul_f16_e64 v14, v14, v199
	v_fma_f16 v79, v18, v20, -v79
	v_mul_f16_e64 v18, v18, v195
	v_fmac_f16_e32 v108, 0x38b4, v109
	v_fmac_f16_e32 v69, 0x3b9c, v109
	v_fmamk_f16 v75, v113, 0x3b9c, v86
	v_fmac_f16_e32 v86, 0xbb9c, v113
	v_fmac_f16_e32 v18, v78, v20
	v_lshrrev_b32_e32 v78, 16, v73
	v_mul_f16_e64 v84, v82, v194
	v_fmac_f16_e32 v14, v80, v21
	v_fmac_f16_e32 v108, 0x34f2, v68
	;; [unrolled: 1-line block ×3, first 2 shown]
	v_mul_f16_e64 v80, v78, v193
	v_fmac_f16_e32 v86, 0x38b4, v111
	v_fma_f16 v84, v16, v22, -v84
	v_mul_f16_e64 v16, v16, v194
	v_pack_b32_f16 v108, v108, v112
	v_fma_f16 v80, v73, v23, -v80
	v_mul_f16_e64 v73, v73, v193
	v_fmac_f16_e32 v69, 0x34f2, v15
	v_fmac_f16_e32 v86, 0x34f2, v17
	;; [unrolled: 1-line block ×3, first 2 shown]
	v_add_f16_e32 v82, v79, v80
	v_fmac_f16_e32 v73, v78, v23
	v_add_f16_e32 v78, v81, v84
	v_fmac_f16_e32 v74, 0x38b4, v107
	v_fmac_f16_e32 v75, 0xb8b4, v111
	ds_store_2addr_b32 v240, v85, v108 offset1:77
	v_pack_b32_f16 v69, v69, v86
	v_fma_f16 v78, -0.5, v78, v12
	v_lshrrev_b32_e32 v85, 16, v12
	v_add_f16_e32 v86, v12, v79
	v_fmac_f16_e32 v12, -0.5, v82
	v_sub_f16_e32 v82, v81, v79
	v_sub_f16_e32 v108, v84, v80
	v_fmac_f16_e32 v74, 0x34f2, v15
	v_fmac_f16_e32 v75, 0x34f2, v17
	v_add_f16_e32 v112, v18, v73
	v_add_f16_e32 v125, v85, v18
	;; [unrolled: 1-line block ×4, first 2 shown]
	v_pack_b32_f16 v15, v74, v75
	v_sub_f16_e32 v126, v16, v73
	v_fmac_f16_e32 v87, 0xbb9c, v107
	v_sub_f16_e64 v128, v18, v73
	v_fma_f16 v108, -0.5, v108, v85
	v_fmac_f16_e32 v85, -0.5, v112
	v_sub_f16_e32 v112, v14, v18
	ds_store_2addr_b32 v240, v15, v69 offset0:154 offset1:231
	v_add_f16_e32 v15, v86, v81
	v_add_f16_e32 v69, v125, v14
	v_fmac_f16_e32 v87, 0xb8b4, v109
	v_add_f16_e32 v112, v112, v126
	v_sub_f16_e32 v126, v14, v16
	v_add_f16_e32 v15, v15, v84
	v_sub_f16_e32 v14, v18, v14
	v_add_f16_e32 v18, v69, v16
	v_sub_f16_e64 v132, v79, v80
	v_fmac_f16_e32 v87, 0x34f2, v68
	v_sub_f16_e32 v17, v79, v81
	v_sub_f16_e32 v68, v80, v84
	v_add_f16_e32 v15, v15, v80
	v_add_f16_e32 v18, v18, v73
	v_sub_f16_e64 v129, v81, v84
	v_sub_f16_e32 v16, v73, v16
	v_add_f16_e32 v17, v17, v68
	v_fma_f16 v68, 0xbb9c, v132, v108
	v_pack_b32_f16 v15, v15, v18
	v_fma_f16 v18, 0x3b9c, v128, v78
	v_fmamk_f16 v127, v126, 0xbb9c, v12
	v_fmac_f16_e32 v12, 0x3b9c, v126
	v_fma_f16 v130, 0x3b9c, v129, v85
	v_fmac_f16_e64 v85, 0xbb9c, v129
	v_add_f16_e32 v14, v14, v16
	v_pack_b32_f16 v16, v87, v110
	v_fmac_f16_e32 v18, 0x38b4, v126
	v_fmac_f16_e64 v68, 0xb8b4, v129
	v_fmac_f16_e64 v12, 0xb8b4, v128
	;; [unrolled: 1-line block ×3, first 2 shown]
	ds_store_b32 v240, v16 offset:1232
	v_fmac_f16_e32 v18, 0x34f2, v17
	v_fmac_f16_e32 v68, 0x34f2, v14
	v_lshlrev_b32_e32 v16, 2, v13
	v_fmac_f16_e64 v127, 0x38b4, v128
	v_fmac_f16_e64 v130, 0xb8b4, v132
	;; [unrolled: 1-line block ×4, first 2 shown]
	v_fmac_f16_e32 v12, 0x34f2, v82
	v_fmac_f16_e32 v85, 0x34f2, v112
	v_pack_b32_f16 v18, v18, v68
	v_add_nc_u32_e32 v13, 0x1800, v16
	v_fmac_f16_e32 v127, 0x34f2, v82
	v_fmac_f16_e64 v130, 0x34f2, v112
	v_fmac_f16_e32 v78, 0xb8b4, v126
	v_fmac_f16_e64 v108, 0x38b4, v129
	v_pack_b32_f16 v12, v12, v85
	ds_store_2addr_b32 v13, v15, v18 offset0:4 offset1:81
	v_pack_b32_f16 v15, v127, v130
	v_fmac_f16_e32 v78, 0x34f2, v17
	v_fmac_f16_e32 v108, 0x34f2, v14
	scratch_store_b32 off, v16, off offset:172 ; 4-byte Folded Spill
	ds_store_2addr_b32 v13, v15, v12 offset0:158 offset1:235
	v_pack_b32_f16 v12, v78, v108
	ds_store_b32 v16, v12 offset:7392
	v_lshlrev_b32_e32 v16, 4, v72
	global_wb scope:SCOPE_SE
	s_wait_storecnt_dscnt 0x0
	s_barrier_signal -1
	s_barrier_wait -1
	global_inv scope:SCOPE_SE
	ds_load_2addr_b32 v[68:69], v121 offset0:2 offset1:57
	s_clause 0x1
	global_load_b128 v[12:15], v19, s[10:11] offset:1512
	global_load_b128 v[16:19], v16, s[10:11] offset:1512
	ds_load_2addr_b32 v[107:108], v119 offset0:74 offset1:129
	ds_load_2addr_b32 v[109:110], v120 offset0:76 offset1:131
	s_wait_dscnt 0x2
	v_lshrrev_b32_e32 v72, 16, v68
	s_wait_loadcnt 0x1
	v_lshrrev_b32_e32 v79, 16, v13
	s_wait_loadcnt 0x0
	v_lshrrev_b32_e32 v75, 16, v17
	v_lshrrev_b32_e32 v82, 16, v15
	;; [unrolled: 1-line block ×4, first 2 shown]
	v_mul_f16_e32 v73, v72, v79
	v_mul_f16_e32 v84, v68, v79
	v_mul_f16_e32 v79, v69, v75
	v_lshrrev_b32_e32 v216, 16, v18
	s_delay_alu instid0(VALU_DEP_4) | instskip(SKIP_3) | instid1(VALU_DEP_3)
	v_fma_f16 v83, v68, v13, -v73
	v_lshrrev_b32_e32 v73, 16, v69
	v_fmac_f16_e32 v84, v72, v13
	v_lshrrev_b32_e32 v72, 16, v14
	v_mul_f16_e32 v74, v73, v75
	v_fmac_f16_e32 v79, v73, v17
	s_wait_dscnt 0x0
	s_delay_alu instid0(VALU_DEP_3) | instskip(NEXT) | instid1(VALU_DEP_3)
	v_mul_f16_e32 v111, v110, v72
	v_fma_f16 v78, v69, v17, -v74
	ds_load_2addr_b32 v[68:69], v251 offset0:4 offset1:59
	s_wait_dscnt 0x0
	v_lshrrev_b32_e32 v74, 16, v68
	v_mul_f16_e32 v86, v68, v82
	s_delay_alu instid0(VALU_DEP_2) | instskip(NEXT) | instid1(VALU_DEP_2)
	v_mul_f16_e32 v75, v74, v82
	v_fmac_f16_e32 v86, v74, v15
	s_delay_alu instid0(VALU_DEP_2) | instskip(SKIP_2) | instid1(VALU_DEP_2)
	v_fma_f16 v85, v68, v15, -v75
	v_lshrrev_b32_e32 v75, 16, v69
	v_lshrrev_b32_e32 v68, 16, v108
	v_mul_f16_e32 v80, v75, v81
	v_mul_f16_e32 v81, v69, v81
	s_delay_alu instid0(VALU_DEP_2) | instskip(SKIP_1) | instid1(VALU_DEP_3)
	v_fma_f16 v80, v69, v19, -v80
	v_lshrrev_b32_e32 v69, 16, v12
	v_fmac_f16_e32 v81, v75, v19
	s_delay_alu instid0(VALU_DEP_2) | instskip(NEXT) | instid1(VALU_DEP_1)
	v_mul_f16_e32 v87, v108, v69
	v_fmac_f16_e32 v87, v68, v12
	v_mul_f16_e32 v68, v68, v69
	v_lshrrev_b32_e32 v69, 16, v110
	s_delay_alu instid0(VALU_DEP_3) | instskip(NEXT) | instid1(VALU_DEP_3)
	v_sub_f16_e32 v125, v87, v86
	v_fma_f16 v108, v108, v12, -v68
	s_delay_alu instid0(VALU_DEP_3) | instskip(SKIP_1) | instid1(VALU_DEP_3)
	v_fmac_f16_e32 v111, v69, v14
	v_mul_f16_e32 v69, v69, v72
	v_sub_f16_e32 v68, v108, v83
	v_add_f16_e32 v73, v108, v85
	s_delay_alu instid0(VALU_DEP_3) | instskip(SKIP_1) | instid1(VALU_DEP_2)
	v_fma_f16 v110, v110, v14, -v69
	v_sub_f16_e32 v82, v84, v111
	v_sub_f16_e32 v69, v85, v110
	v_add_f16_e32 v72, v83, v110
	s_delay_alu instid0(VALU_DEP_2) | instskip(SKIP_2) | instid1(VALU_DEP_1)
	v_add_f16_e32 v112, v68, v69
	v_sub_f16_e32 v68, v83, v108
	v_sub_f16_e32 v69, v110, v85
	v_add_f16_e32 v113, v68, v69
	ds_load_2addr_b32 v[68:69], v139 offset1:55
	s_wait_dscnt 0x0
	v_fma_f16 v72, -0.5, v72, v68
	v_fma_f16 v73, -0.5, v73, v68
	v_lshrrev_b32_e32 v143, 16, v69
	s_delay_alu instid0(VALU_DEP_3) | instskip(SKIP_1) | instid1(VALU_DEP_4)
	v_fmamk_f16 v74, v125, 0x3b9c, v72
	v_fmac_f16_e32 v72, 0xbb9c, v125
	v_fmamk_f16 v75, v82, 0xbb9c, v73
	v_fmac_f16_e32 v73, 0x3b9c, v82
	s_delay_alu instid0(VALU_DEP_4) | instskip(NEXT) | instid1(VALU_DEP_4)
	v_fmac_f16_e32 v74, 0x38b4, v82
	v_fmac_f16_e32 v72, 0xb8b4, v82
	v_add_f16_e32 v82, v68, v108
	v_sub_f16_e32 v108, v108, v85
	v_fmac_f16_e32 v73, 0xb8b4, v125
	v_fmac_f16_e32 v74, 0x34f2, v112
	;; [unrolled: 1-line block ×3, first 2 shown]
	v_add_f16_e32 v82, v82, v83
	v_fmac_f16_e32 v75, 0x38b4, v125
	v_fmac_f16_e32 v73, 0x34f2, v113
	ds_load_2addr_b32 v[125:126], v120 offset0:186 offset1:241
	v_add_f16_e32 v82, v82, v110
	v_sub_f16_e32 v110, v83, v110
	v_lshrrev_b32_e32 v83, 16, v68
	v_add_f16_e32 v68, v84, v111
	v_fmac_f16_e32 v75, 0x34f2, v113
	v_add_f16_e32 v82, v82, v85
	v_add_f16_e32 v85, v87, v86
	;; [unrolled: 1-line block ×3, first 2 shown]
	v_fma_f16 v68, -0.5, v68, v83
	s_delay_alu instid0(VALU_DEP_3) | instskip(NEXT) | instid1(VALU_DEP_3)
	v_fmac_f16_e32 v83, -0.5, v85
	v_add_f16_e32 v85, v112, v84
	v_sub_f16_e32 v112, v87, v84
	v_sub_f16_e32 v87, v84, v87
	s_delay_alu instid0(VALU_DEP_3)
	v_add_f16_e32 v84, v85, v111
	v_sub_f16_e32 v85, v86, v111
	v_sub_f16_e32 v111, v111, v86
	s_wait_dscnt 0x0
	v_mul_f16_e64 v141, v125, v216
	v_lshrrev_b32_e32 v221, 16, v126
	v_add_f16_e32 v84, v84, v86
	v_add_f16_e32 v112, v112, v85
	v_fmamk_f16 v85, v110, 0x3b9c, v83
	v_fmac_f16_e32 v83, 0xbb9c, v110
	v_add_f16_e32 v87, v87, v111
	v_pack_b32_f16 v138, v82, v84
	v_fmamk_f16 v86, v108, 0xbb9c, v68
	v_fmac_f16_e32 v68, 0x3b9c, v108
	v_fmac_f16_e32 v83, 0x38b4, v108
	v_lshrrev_b32_e32 v84, 16, v125
	v_fmac_f16_e32 v85, 0xb8b4, v108
	v_fmac_f16_e32 v86, 0xb8b4, v110
	;; [unrolled: 1-line block ×4, first 2 shown]
	v_fmac_f16_e64 v141, v84, v18
	v_mul_f16_e64 v84, v84, v216
	v_fmac_f16_e32 v86, 0x34f2, v112
	v_fmac_f16_e32 v68, 0x34f2, v112
	v_pack_b32_f16 v73, v73, v83
	ds_load_2addr_b32 v[82:83], v119 offset0:184 offset1:239
	v_fma_f16 v125, v125, v18, -v84
	v_fmac_f16_e32 v85, 0x34f2, v87
	v_pack_b32_f16 v68, v72, v68
	v_pack_b32_f16 v74, v74, v86
	v_sub_f16_e64 v150, v79, v141
	v_sub_f16_e64 v164, v78, v125
	v_pack_b32_f16 v75, v75, v85
	s_wait_dscnt 0x0
	v_lshrrev_b32_e32 v72, 16, v82
	v_mul_f16_e64 v140, v82, v217
	v_lshrrev_b32_e32 v220, 16, v83
	s_delay_alu instid0(VALU_DEP_2) | instskip(SKIP_1) | instid1(VALU_DEP_2)
	v_fmac_f16_e64 v140, v72, v16
	v_mul_f16_e64 v72, v72, v217
	v_add_f16_e64 v84, v143, v140
	s_delay_alu instid0(VALU_DEP_2) | instskip(SKIP_1) | instid1(VALU_DEP_3)
	v_fma_f16 v82, v82, v16, -v72
	v_sub_f16_e64 v156, v140, v81
	v_add_f16_e32 v84, v84, v79
	s_delay_alu instid0(VALU_DEP_3) | instskip(SKIP_1) | instid1(VALU_DEP_3)
	v_add_f16_e32 v72, v69, v82
	v_sub_f16_e64 v168, v82, v80
	v_add_f16_e64 v84, v84, v141
	s_delay_alu instid0(VALU_DEP_3) | instskip(NEXT) | instid1(VALU_DEP_2)
	v_add_f16_e32 v72, v72, v78
	v_add_f16_e32 v84, v84, v81
	s_delay_alu instid0(VALU_DEP_2) | instskip(NEXT) | instid1(VALU_DEP_1)
	v_add_f16_e32 v72, v72, v125
	v_add_f16_e32 v72, v72, v80
	s_delay_alu instid0(VALU_DEP_1)
	v_pack_b32_f16 v72, v72, v84
	ds_load_2addr_b32 v[127:128], v139 offset0:110 offset1:165
	ds_load_2addr_b32 v[129:130], v121 offset0:112 offset1:167
	;; [unrolled: 1-line block ×10, first 2 shown]
	ds_store_b32 v139, v74 offset:1540
	ds_store_b32 v139, v75 offset:3080
	;; [unrolled: 1-line block ×4, first 2 shown]
	v_add_f16_e32 v68, v78, v125
	ds_load_b32 v108, v139 offset:7480
	ds_store_2addr_b32 v139, v138, v72 offset1:55
	v_sub_f16_e32 v72, v125, v80
	v_fma_f16 v138, -0.5, v68, v69
	v_add_f16_e32 v68, v82, v80
	v_sub_f16_e32 v80, v80, v125
	s_wait_dscnt 0xf
	v_lshrrev_b32_e32 v255, 16, v127
	s_delay_alu instid0(VALU_DEP_3)
	v_fmac_f16_e32 v69, -0.5, v68
	v_sub_f16_e32 v68, v78, v82
	v_sub_f16_e32 v78, v82, v78
	s_wait_dscnt 0xd
	v_lshrrev_b32_e32 v82, 16, v132
	v_fma_f16 v152, 0xbb9c, v150, v69
	v_add_f16_e64 v145, v68, v72
	v_add_f16_e64 v68, v79, v141
	v_sub_f16_e64 v72, v141, v81
	v_fmac_f16_e64 v69, 0x3b9c, v150
	v_add_f16_e32 v78, v78, v80
	v_lshrrev_b32_e32 v80, 16, v129
	v_fma_f16 v147, -0.5, v68, v143
	v_add_f16_e64 v68, v140, v81
	v_fmac_f16_e64 v69, 0xb8b4, v156
	v_sub_f16_e64 v81, v81, v141
	v_fmac_f16_e64 v152, 0x38b4, v156
	v_fma_f16 v141, 0xbb9c, v168, v147
	v_fmac_f16_e64 v143, -0.5, v68
	v_sub_f16_e64 v68, v79, v140
	v_fmac_f16_e64 v69, 0x34f2, v145
	v_sub_f16_e64 v79, v140, v79
	v_fmac_f16_e64 v141, 0xb8b4, v164
	v_fma_f16 v166, 0x3b9c, v164, v143
	v_fmac_f16_e64 v143, 0xbb9c, v164
	v_add_f16_e64 v149, v68, v72
	v_lshlrev_b32_e32 v68, 4, v71
	v_add_f16_e32 v79, v79, v81
	v_fmac_f16_e64 v152, 0x34f2, v145
	v_fmac_f16_e64 v143, 0x38b4, v168
	;; [unrolled: 1-line block ×5, first 2 shown]
	s_wait_dscnt 0xb
	v_lshrrev_b32_e32 v168, 16, v137
	v_fmac_f16_e64 v143, 0x34f2, v149
	v_fmac_f16_e64 v166, 0x34f2, v149
	;; [unrolled: 1-line block ×3, first 2 shown]
	v_lshrrev_b32_e32 v164, 16, v135
	s_delay_alu instid0(VALU_DEP_4)
	v_pack_b32_f16 v143, v69, v143
	v_lshlrev_b32_e32 v69, 4, v70
	s_clause 0x1
	global_load_b128 v[72:75], v68, s[10:11] offset:1512
	global_load_b128 v[68:71], v69, s[10:11] offset:1512
	v_fmac_f16_e64 v147, 0x34f2, v79
	s_wait_loadcnt 0x1
	v_lshrrev_b32_e32 v219, 16, v72
	s_delay_alu instid0(VALU_DEP_1) | instskip(NEXT) | instid1(VALU_DEP_1)
	v_mul_f16_e64 v218, v220, v219
	v_fma_f16 v222, v83, v72, -v218
	v_lshrrev_b32_e32 v218, 16, v74
	v_mul_f16_e64 v83, v83, v219
	s_delay_alu instid0(VALU_DEP_2) | instskip(NEXT) | instid1(VALU_DEP_2)
	v_mul_f16_e64 v235, v221, v218
	v_fmac_f16_e64 v83, v220, v72
	v_lshrrev_b32_e32 v220, 16, v75
	s_delay_alu instid0(VALU_DEP_3) | instskip(SKIP_1) | instid1(VALU_DEP_3)
	v_fma_f16 v235, v126, v74, -v235
	v_mul_f16_e64 v126, v126, v218
	v_mul_f16_e64 v125, v132, v220
	v_add_f16_e64 v149, v255, v83
	s_delay_alu instid0(VALU_DEP_3) | instskip(SKIP_1) | instid1(VALU_DEP_4)
	v_fmac_f16_e64 v126, v221, v74
	v_lshrrev_b32_e32 v221, 16, v73
	v_fmac_f16_e32 v125, v82, v75
	v_mul_f16_e64 v82, v82, v220
	s_delay_alu instid0(VALU_DEP_3) | instskip(NEXT) | instid1(VALU_DEP_3)
	v_mul_f16_e64 v81, v129, v221
	v_sub_f16_e64 v140, v125, v126
	s_delay_alu instid0(VALU_DEP_3) | instskip(SKIP_1) | instid1(VALU_DEP_4)
	v_fma_f16 v82, v132, v75, -v82
	v_sub_f16_e64 v242, v83, v125
	v_fmac_f16_e32 v81, v80, v73
	v_mul_f16_e64 v80, v80, v221
	s_delay_alu instid0(VALU_DEP_4)
	v_sub_f16_e64 v132, v82, v235
	v_sub_f16_e64 v144, v222, v82
	;; [unrolled: 1-line block ×3, first 2 shown]
	v_add_f16_e64 v142, v81, v126
	v_fma_f16 v80, v129, v73, -v80
	v_sub_f16_e64 v254, v81, v126
	s_delay_alu instid0(VALU_DEP_3) | instskip(NEXT) | instid1(VALU_DEP_3)
	v_fma_f16 v142, -0.5, v142, v255
	v_sub_f16_e64 v129, v222, v80
	v_sub_f16_e64 v146, v80, v235
	s_delay_alu instid0(VALU_DEP_3) | instskip(NEXT) | instid1(VALU_DEP_3)
	v_fma_f16 v170, 0xbb9c, v144, v142
	v_add_f16_e64 v129, v129, v132
	v_sub_f16_e64 v132, v83, v81
	v_fmac_f16_e64 v142, 0x3b9c, v144
	s_delay_alu instid0(VALU_DEP_4) | instskip(NEXT) | instid1(VALU_DEP_3)
	v_fmac_f16_e64 v170, 0xb8b4, v146
	v_add_f16_e64 v132, v132, v140
	v_fma_f16 v140, 0x3b9c, v156, v138
	v_fmac_f16_e64 v138, 0xbb9c, v156
	v_fmac_f16_e64 v142, 0x38b4, v146
	s_delay_alu instid0(VALU_DEP_4) | instskip(NEXT) | instid1(VALU_DEP_4)
	v_fmac_f16_e64 v170, 0x34f2, v132
	v_fmac_f16_e64 v140, 0x38b4, v150
	s_delay_alu instid0(VALU_DEP_4) | instskip(NEXT) | instid1(VALU_DEP_4)
	v_fmac_f16_e64 v138, 0xb8b4, v150
	v_fmac_f16_e64 v142, 0x34f2, v132
	s_delay_alu instid0(VALU_DEP_3) | instskip(NEXT) | instid1(VALU_DEP_3)
	v_fmac_f16_e64 v140, 0x34f2, v78
	v_fmac_f16_e64 v138, 0x34f2, v78
	s_delay_alu instid0(VALU_DEP_2) | instskip(SKIP_1) | instid1(VALU_DEP_3)
	v_pack_b32_f16 v140, v140, v141
	v_add_f16_e64 v141, v80, v235
	v_pack_b32_f16 v78, v138, v147
	s_delay_alu instid0(VALU_DEP_2) | instskip(NEXT) | instid1(VALU_DEP_1)
	v_fma_f16 v141, -0.5, v141, v127
	v_fma_f16 v247, 0x3b9c, v242, v141
	v_fmac_f16_e64 v141, 0xbb9c, v242
	s_delay_alu instid0(VALU_DEP_2) | instskip(NEXT) | instid1(VALU_DEP_2)
	v_fmac_f16_e64 v247, 0x38b4, v254
	v_fmac_f16_e64 v141, 0xb8b4, v254
	s_delay_alu instid0(VALU_DEP_2) | instskip(NEXT) | instid1(VALU_DEP_2)
	v_fmac_f16_e64 v247, 0x34f2, v129
	v_fmac_f16_e64 v141, 0x34f2, v129
	s_delay_alu instid0(VALU_DEP_2) | instskip(NEXT) | instid1(VALU_DEP_2)
	v_pack_b32_f16 v170, v247, v170
	v_pack_b32_f16 v79, v141, v142
	s_wait_loadcnt 0x0
	v_lshrrev_b32_e32 v141, 16, v70
	ds_store_2addr_b32 v119, v140, v170 offset0:184 offset1:239
	v_sub_f16_e64 v140, v80, v222
	ds_store_2addr_b32 v251, v78, v79 offset0:59 offset1:114
	v_add_f16_e64 v78, v127, v222
	v_add_f16_e64 v79, v149, v81
	v_mul_f16_e64 v132, v136, v141
	v_add_f16_e64 v140, v140, v145
	v_add_f16_e64 v145, v83, v125
	v_sub_f16_e32 v83, v81, v83
	v_add_f16_e32 v78, v78, v80
	v_lshrrev_b32_e32 v80, 16, v130
	v_add_f16_e32 v79, v79, v126
	v_fmac_f16_e64 v255, -0.5, v145
	v_sub_f16_e64 v145, v126, v125
	v_add_f16_e64 v78, v78, v235
	s_delay_alu instid0(VALU_DEP_4) | instskip(NEXT) | instid1(VALU_DEP_4)
	v_add_f16_e32 v79, v79, v125
	v_fma_f16 v170, 0x3b9c, v146, v255
	s_delay_alu instid0(VALU_DEP_4)
	v_add_f16_e64 v83, v83, v145
	v_pack_b32_f16 v145, v152, v166
	v_add_f16_e64 v152, v222, v82
	v_fmac_f16_e64 v255, 0xbb9c, v146
	v_fmac_f16_e64 v170, 0xb8b4, v144
	v_add_f16_e32 v78, v78, v82
	v_lshrrev_b32_e32 v222, 16, v71
	v_fma_f16 v152, -0.5, v152, v127
	v_fmac_f16_e64 v255, 0x38b4, v144
	v_fmac_f16_e64 v170, 0x34f2, v83
	v_pack_b32_f16 v78, v78, v79
	v_lshrrev_b32_e32 v79, 16, v134
	v_fma_f16 v166, 0xbb9c, v254, v152
	v_fmac_f16_e64 v152, 0x3b9c, v254
	v_fmac_f16_e64 v255, 0x34f2, v83
	s_delay_alu instid0(VALU_DEP_3) | instskip(NEXT) | instid1(VALU_DEP_3)
	v_fmac_f16_e64 v166, 0x38b4, v242
	v_fmac_f16_e64 v152, 0xb8b4, v242
	s_delay_alu instid0(VALU_DEP_2) | instskip(NEXT) | instid1(VALU_DEP_2)
	v_fmac_f16_e64 v166, 0x34f2, v140
	v_fmac_f16_e64 v152, 0x34f2, v140
	v_lshrrev_b32_e32 v140, 16, v69
	s_delay_alu instid0(VALU_DEP_3) | instskip(NEXT) | instid1(VALU_DEP_3)
	v_pack_b32_f16 v166, v166, v170
	v_pack_b32_f16 v83, v152, v255
	s_delay_alu instid0(VALU_DEP_3)
	v_mul_f16_e64 v81, v80, v140
	v_mul_f16_e64 v129, v130, v140
	ds_store_2addr_b32 v121, v145, v166 offset0:57 offset1:112
	ds_store_2addr_b32 v120, v143, v83 offset0:186 offset1:241
	v_lshrrev_b32_e32 v143, 16, v68
	v_fma_f16 v127, v130, v69, -v81
	v_lshrrev_b32_e32 v81, 16, v133
	v_fmac_f16_e64 v129, v80, v69
	v_lshrrev_b32_e32 v80, 16, v136
	v_mul_f16_e64 v125, v134, v143
	v_mul_f16_e64 v130, v133, v222
	;; [unrolled: 1-line block ×3, first 2 shown]
	s_delay_alu instid0(VALU_DEP_4) | instskip(NEXT) | instid1(VALU_DEP_4)
	v_fmac_f16_e64 v132, v80, v70
	v_fmac_f16_e32 v125, v79, v68
	v_mul_f16_e64 v79, v79, v143
	v_mul_f16_e64 v80, v80, v141
	v_fma_f16 v126, v133, v71, -v83
	v_fmac_f16_e64 v130, v81, v71
	v_sub_f16_e64 v146, v129, v132
	v_fma_f16 v133, v134, v68, -v79
	v_fma_f16 v134, v136, v70, -v80
	v_lshrrev_b32_e32 v80, 16, v128
	v_sub_f16_e64 v147, v125, v130
	s_delay_alu instid0(VALU_DEP_4) | instskip(NEXT) | instid1(VALU_DEP_4)
	v_add_f16_e64 v79, v128, v133
	v_sub_f16_e64 v149, v127, v134
	s_delay_alu instid0(VALU_DEP_4) | instskip(SKIP_1) | instid1(VALU_DEP_4)
	v_add_f16_e32 v81, v80, v125
	v_sub_f16_e64 v156, v133, v126
	v_add_f16_e32 v79, v79, v127
	s_delay_alu instid0(VALU_DEP_3) | instskip(NEXT) | instid1(VALU_DEP_2)
	v_add_f16_e64 v81, v81, v129
	v_add_f16_e64 v79, v79, v134
	s_delay_alu instid0(VALU_DEP_2) | instskip(NEXT) | instid1(VALU_DEP_2)
	v_add_f16_e64 v81, v81, v132
	v_add_f16_e32 v79, v79, v126
	s_delay_alu instid0(VALU_DEP_2) | instskip(NEXT) | instid1(VALU_DEP_1)
	v_add_f16_e64 v81, v81, v130
	v_pack_b32_f16 v79, v79, v81
	ds_store_2addr_b32 v139, v78, v79 offset0:110 offset1:165
	v_add_f16_e64 v78, v127, v134
	v_sub_f16_e64 v79, v134, v126
	s_delay_alu instid0(VALU_DEP_2) | instskip(SKIP_2) | instid1(VALU_DEP_2)
	v_fma_f16 v136, -0.5, v78, v128
	v_add_f16_e64 v78, v133, v126
	v_sub_f16_e64 v126, v126, v134
	v_fmac_f16_e64 v128, -0.5, v78
	v_sub_f16_e64 v78, v127, v133
	v_sub_f16_e64 v127, v133, v127
	s_delay_alu instid0(VALU_DEP_3) | instskip(NEXT) | instid1(VALU_DEP_3)
	v_fma_f16 v150, 0xbb9c, v146, v128
	v_add_f16_e64 v138, v78, v79
	v_add_f16_e64 v78, v129, v132
	v_sub_f16_e64 v79, v132, v130
	v_fmac_f16_e64 v128, 0x3b9c, v146
	v_add_f16_e32 v126, v127, v126
	v_sub_f16_e64 v127, v130, v132
	v_fma_f16 v142, -0.5, v78, v80
	v_add_f16_e64 v78, v125, v130
	v_fmac_f16_e64 v128, 0xb8b4, v147
	v_fmac_f16_e64 v150, 0x38b4, v147
	s_wait_dscnt 0xd
	v_lshrrev_b32_e32 v130, 16, v86
	v_fmac_f16_e32 v80, -0.5, v78
	v_sub_f16_e64 v78, v129, v125
	v_fmac_f16_e64 v128, 0x34f2, v138
	v_sub_f16_e64 v125, v125, v129
	v_fma_f16 v129, 0x3b9c, v147, v136
	v_fma_f16 v152, 0x3b9c, v149, v80
	v_fmac_f16_e64 v80, 0xbb9c, v149
	v_add_f16_e64 v144, v78, v79
	v_fmac_f16_e64 v136, 0xbb9c, v147
	v_add_f16_e32 v125, v125, v127
	v_fma_f16 v127, 0xbb9c, v156, v142
	v_fmac_f16_e64 v80, 0x38b4, v156
	v_fmac_f16_e64 v142, 0x3b9c, v156
	;; [unrolled: 1-line block ×9, first 2 shown]
	v_fmac_f16_e32 v127, 0x34f2, v125
	v_pack_b32_f16 v128, v128, v80
	s_clause 0x1
	global_load_b128 v[80:83], v76, s[10:11] offset:1512
	global_load_b128 v[76:79], v77, s[10:11] offset:1512
	v_fmac_f16_e64 v142, 0x34f2, v125
	v_lshrrev_b32_e32 v125, 16, v244
	v_fmac_f16_e64 v152, 0xb8b4, v156
	v_fmac_f16_e64 v150, 0x34f2, v138
	v_pack_b32_f16 v127, v129, v127
	v_lshrrev_b32_e32 v146, 16, v84
	v_pack_b32_f16 v136, v136, v142
	v_fmac_f16_e64 v152, 0x34f2, v144
	s_wait_loadcnt 0x1
	v_lshrrev_b32_e32 v235, 16, v80
	v_lshrrev_b32_e32 v149, 16, v81
	;; [unrolled: 1-line block ×3, first 2 shown]
	s_wait_loadcnt 0x0
	v_lshrrev_b32_e32 v242, 16, v76
	v_lshrrev_b32_e32 v156, 16, v78
	v_mul_f16_e64 v145, v164, v235
	v_mul_f16_e64 v126, v244, v149
	;; [unrolled: 1-line block ×3, first 2 shown]
	s_wait_dscnt 0xb
	v_mul_f16_e64 v255, v110, v156
	v_fma_f16 v166, v135, v80, -v145
	v_lshrrev_b32_e32 v145, 16, v82
	v_fmac_f16_e32 v126, v125, v81
	v_mul_f16_e64 v125, v125, v149
	v_fmac_f16_e64 v132, v130, v83
	v_mul_f16_e64 v130, v130, v147
	v_mul_f16_e64 v170, v168, v145
	;; [unrolled: 1-line block ×3, first 2 shown]
	v_fma_f16 v125, v244, v81, -v125
	s_delay_alu instid0(VALU_DEP_4) | instskip(NEXT) | instid1(VALU_DEP_4)
	v_fma_f16 v86, v86, v83, -v130
	v_fma_f16 v170, v137, v82, -v170
	v_mul_f16_e64 v137, v137, v145
	v_fmac_f16_e64 v135, v164, v80
	v_sub_f16_e64 v130, v166, v125
	s_delay_alu instid0(VALU_DEP_4) | instskip(NEXT) | instid1(VALU_DEP_4)
	v_sub_f16_e64 v133, v86, v170
	v_fmac_f16_e64 v137, v168, v82
	v_add_f16_e64 v129, v125, v170
	v_sub_f16_e64 v138, v135, v132
	v_sub_f16_e64 v168, v166, v86
	v_add_f16_e64 v130, v130, v133
	v_sub_f16_e64 v133, v135, v126
	v_sub_f16_e64 v134, v132, v137
	v_fma_f16 v129, -0.5, v129, v84
	v_sub_f16_e64 v144, v126, v137
	v_sub_f16_e64 v244, v125, v170
	s_delay_alu instid0(VALU_DEP_4)
	v_add_f16_e64 v133, v133, v134
	v_pack_b32_f16 v134, v150, v152
	v_add_f16_e64 v150, v126, v137
	v_fma_f16 v142, 0x3b9c, v138, v129
	v_lshrrev_b32_e32 v152, 16, v77
	v_fmac_f16_e64 v129, 0xbb9c, v138
	s_delay_alu instid0(VALU_DEP_4) | instskip(NEXT) | instid1(VALU_DEP_4)
	v_fma_f16 v164, -0.5, v150, v146
	v_fmac_f16_e64 v142, 0x38b4, v144
	s_delay_alu instid0(VALU_DEP_3) | instskip(NEXT) | instid1(VALU_DEP_3)
	v_fmac_f16_e64 v129, 0xb8b4, v144
	v_fma_f16 v150, 0xbb9c, v168, v164
	s_delay_alu instid0(VALU_DEP_3) | instskip(SKIP_1) | instid1(VALU_DEP_4)
	v_fmac_f16_e64 v142, 0x34f2, v130
	v_fmac_f16_e64 v164, 0x3b9c, v168
	;; [unrolled: 1-line block ×3, first 2 shown]
	s_delay_alu instid0(VALU_DEP_4) | instskip(NEXT) | instid1(VALU_DEP_3)
	v_fmac_f16_e64 v150, 0xb8b4, v244
	v_fmac_f16_e64 v164, 0x38b4, v244
	s_delay_alu instid0(VALU_DEP_2) | instskip(NEXT) | instid1(VALU_DEP_2)
	v_fmac_f16_e64 v150, 0x34f2, v133
	v_fmac_f16_e64 v164, 0x34f2, v133
	s_delay_alu instid0(VALU_DEP_2)
	v_pack_b32_f16 v142, v142, v150
	ds_store_b32 v139, v134 offset:3740
	ds_store_b32 v139, v128 offset:5280
	;; [unrolled: 1-line block ×3, first 2 shown]
	ds_store_2addr_b32 v252, v127, v142 offset0:38 offset1:93
	v_lshrrev_b32_e32 v136, 16, v87
	v_lshrrev_b32_e32 v150, 16, v79
	;; [unrolled: 1-line block ×3, first 2 shown]
	v_mul_f16_e64 v134, v245, v152
	v_pack_b32_f16 v129, v129, v164
	s_delay_alu instid0(VALU_DEP_4) | instskip(NEXT) | instid1(VALU_DEP_4)
	v_mul_f16_e64 v142, v136, v150
	v_mul_f16_e64 v128, v127, v152
	;; [unrolled: 1-line block ×3, first 2 shown]
	v_fmac_f16_e64 v134, v127, v77
	v_add_f16_e64 v127, v146, v135
	v_fma_f16 v142, v87, v79, -v142
	v_add_f16_e64 v87, v84, v166
	v_fma_f16 v128, v245, v77, -v128
	v_fmac_f16_e64 v254, v136, v79
	v_add_f16_e32 v127, v127, v126
	v_mul_f16_e64 v136, v112, v242
	v_add_f16_e32 v87, v87, v125
	v_lshrrev_b32_e32 v245, 16, v110
	s_delay_alu instid0(VALU_DEP_4) | instskip(NEXT) | instid1(VALU_DEP_3)
	v_add_f16_e64 v127, v127, v137
	v_add_f16_e64 v87, v87, v170
	s_delay_alu instid0(VALU_DEP_3) | instskip(SKIP_1) | instid1(VALU_DEP_4)
	v_fmac_f16_e64 v255, v245, v78
	v_mul_f16_e64 v245, v245, v156
	v_add_f16_e64 v127, v127, v132
	s_delay_alu instid0(VALU_DEP_4) | instskip(NEXT) | instid1(VALU_DEP_3)
	v_add_f16_e32 v87, v87, v86
	v_fma_f16 v110, v110, v78, -v245
	v_lshrrev_b32_e32 v245, 16, v85
	s_delay_alu instid0(VALU_DEP_3) | instskip(SKIP_1) | instid1(VALU_DEP_1)
	v_pack_b32_f16 v87, v87, v127
	v_lshrrev_b32_e32 v127, 16, v112
	v_fmac_f16_e64 v136, v127, v76
	v_mul_f16_e64 v127, v127, v242
	s_delay_alu instid0(VALU_DEP_2) | instskip(NEXT) | instid1(VALU_DEP_2)
	v_add_f16_e64 v247, v245, v136
	v_fma_f16 v112, v112, v76, -v127
	s_delay_alu instid0(VALU_DEP_2) | instskip(NEXT) | instid1(VALU_DEP_2)
	v_add_f16_e64 v247, v247, v134
	v_add_f16_e32 v127, v85, v112
	s_delay_alu instid0(VALU_DEP_2) | instskip(NEXT) | instid1(VALU_DEP_2)
	v_add_f16_e64 v247, v247, v255
	v_add_f16_e64 v127, v127, v128
	s_delay_alu instid0(VALU_DEP_2) | instskip(NEXT) | instid1(VALU_DEP_2)
	v_add_f16_e64 v247, v247, v254
	v_add_f16_e32 v127, v127, v110
	s_delay_alu instid0(VALU_DEP_1) | instskip(NEXT) | instid1(VALU_DEP_1)
	v_add_f16_e64 v127, v127, v142
	v_pack_b32_f16 v127, v127, v247
	ds_store_2addr_b32 v253, v87, v127 offset0:92 offset1:147
	v_sub_f16_e64 v87, v125, v166
	v_add_f16_e64 v125, v166, v86
	v_sub_f16_e64 v86, v170, v86
	v_lshrrev_b32_e32 v166, 16, v107
	s_delay_alu instid0(VALU_DEP_3) | instskip(NEXT) | instid1(VALU_DEP_3)
	v_fma_f16 v84, -0.5, v125, v84
	v_add_f16_e32 v86, v87, v86
	v_add_f16_e64 v87, v135, v132
	s_delay_alu instid0(VALU_DEP_3) | instskip(SKIP_1) | instid1(VALU_DEP_3)
	v_fma_f16 v125, 0xbb9c, v144, v84
	v_fmac_f16_e64 v84, 0x3b9c, v144
	v_fmac_f16_e64 v146, -0.5, v87
	v_sub_f16_e64 v87, v126, v135
	v_sub_f16_e64 v126, v137, v132
	v_fmac_f16_e64 v125, 0x38b4, v138
	v_fmac_f16_e64 v84, 0xb8b4, v138
	v_fma_f16 v127, 0x3b9c, v244, v146
	v_fmac_f16_e64 v146, 0xbb9c, v244
	v_sub_f16_e64 v132, v255, v254
	v_fmac_f16_e32 v125, 0x34f2, v86
	v_fmac_f16_e32 v84, 0x34f2, v86
	v_add_f16_e32 v86, v87, v126
	v_add_f16_e64 v87, v128, v110
	v_fmac_f16_e64 v127, 0xb8b4, v168
	v_fmac_f16_e64 v146, 0x38b4, v168
	v_sub_f16_e64 v135, v128, v110
	v_sub_f16_e64 v137, v112, v142
	v_fma_f16 v126, -0.5, v87, v85
	v_add_f16_e64 v87, v112, v142
	v_fmac_f16_e32 v127, 0x34f2, v86
	v_fmac_f16_e64 v146, 0x34f2, v86
	v_sub_f16_e64 v86, v128, v112
	v_lshrrev_b32_e32 v144, 16, v111
	v_fmac_f16_e32 v85, -0.5, v87
	v_sub_f16_e64 v87, v110, v142
	v_pack_b32_f16 v125, v125, v127
	v_sub_f16_e64 v127, v134, v255
	v_pack_b32_f16 v84, v84, v146
	v_sub_f16_e64 v112, v112, v128
	v_add_f16_e32 v86, v86, v87
	v_add_f16_e64 v87, v134, v255
	v_fma_f16 v133, 0xbb9c, v127, v85
	v_fmac_f16_e32 v85, 0x3b9c, v127
	v_sub_f16_e64 v110, v142, v110
	v_sub_f16_e64 v128, v136, v134
	v_fma_f16 v130, -0.5, v87, v245
	v_add_f16_e64 v87, v136, v254
	s_delay_alu instid0(VALU_DEP_4) | instskip(NEXT) | instid1(VALU_DEP_2)
	v_add_f16_e32 v110, v112, v110
	v_fmac_f16_e64 v245, -0.5, v87
	v_sub_f16_e64 v87, v134, v136
	v_fma_f16 v134, 0xbb9c, v137, v130
	v_fmac_f16_e64 v130, 0x3b9c, v137
	s_delay_alu instid0(VALU_DEP_4) | instskip(NEXT) | instid1(VALU_DEP_4)
	v_fma_f16 v138, 0x3b9c, v135, v245
	v_add_f16_e64 v87, v87, v132
	v_sub_f16_e64 v132, v136, v254
	v_fmac_f16_e64 v245, 0xbb9c, v135
	v_fmac_f16_e64 v134, 0xb8b4, v135
	;; [unrolled: 1-line block ×8, first 2 shown]
	v_fma_f16 v112, 0x3b9c, v132, v126
	v_fmac_f16_e64 v133, 0x34f2, v86
	v_fmac_f16_e32 v85, 0x34f2, v86
	v_fmac_f16_e64 v245, 0x34f2, v87
	v_fmac_f16_e64 v126, 0xbb9c, v132
	v_sub_f16_e64 v132, v254, v255
	v_pack_b32_f16 v133, v133, v138
	ds_store_b32 v139, v84 offset:5500
	ds_store_b32 v139, v129 offset:7040
	ds_store_2addr_b32 v123, v125, v133 offset0:94 offset1:149
	v_lshlrev_b32_e32 v84, 4, v124
	v_pack_b32_f16 v125, v85, v245
	v_lshrrev_b32_e32 v124, 16, v113
	v_lshrrev_b32_e32 v133, 16, v109
	v_fmac_f16_e32 v112, 0x38b4, v127
	global_load_b128 v[84:87], v84, s[10:11] offset:1512
	v_fmac_f16_e32 v126, 0xb8b4, v127
	v_add_f16_e64 v127, v128, v132
	v_fmac_f16_e32 v112, 0x34f2, v110
	s_delay_alu instid0(VALU_DEP_3) | instskip(NEXT) | instid1(VALU_DEP_3)
	v_fmac_f16_e32 v126, 0x34f2, v110
	v_fmac_f16_e64 v134, 0x34f2, v127
	v_fmac_f16_e64 v130, 0x34f2, v127
	s_delay_alu instid0(VALU_DEP_2)
	v_pack_b32_f16 v112, v112, v134
	s_wait_loadcnt 0x0
	v_lshrrev_b32_e32 v247, 16, v84
	v_lshrrev_b32_e32 v164, 16, v85
	;; [unrolled: 1-line block ×4, first 2 shown]
	s_delay_alu instid0(VALU_DEP_4) | instskip(NEXT) | instid1(VALU_DEP_4)
	v_mul_f16_e64 v129, v124, v247
	v_mul_f16_e64 v138, v133, v164
	s_delay_alu instid0(VALU_DEP_4) | instskip(NEXT) | instid1(VALU_DEP_3)
	v_mul_f16_e64 v146, v144, v245
	v_fma_f16 v129, v113, v84, -v129
	v_mul_f16_e64 v113, v113, v247
	s_delay_alu instid0(VALU_DEP_4)
	v_fma_f16 v138, v109, v85, -v138
	v_mul_f16_e64 v109, v109, v164
	v_fma_f16 v146, v111, v86, -v146
	v_mul_f16_e64 v111, v111, v245
	v_fmac_f16_e32 v113, v124, v84
	s_wait_dscnt 0xe
	v_lshrrev_b32_e32 v124, 16, v108
	v_fmac_f16_e64 v109, v133, v85
	v_add_f16_e64 v168, v107, v129
	v_fmac_f16_e64 v111, v144, v86
	v_add_f16_e64 v151, v166, v113
	v_mul_f16_e64 v133, v124, v244
	v_sub_f16_e64 v127, v129, v138
	v_add_f16_e64 v110, v168, v138
	v_sub_f16_e64 v172, v138, v146
	s_delay_alu instid0(VALU_DEP_4) | instskip(SKIP_1) | instid1(VALU_DEP_4)
	v_fma_f16 v133, v108, v87, -v133
	v_mul_f16_e64 v108, v108, v244
	v_add_f16_e64 v110, v110, v146
	s_delay_alu instid0(VALU_DEP_3) | instskip(NEXT) | instid1(VALU_DEP_3)
	v_add_f16_e64 v144, v129, v133
	v_fmac_f16_e32 v108, v124, v87
	v_add_f16_e64 v124, v138, v146
	v_sub_f16_e64 v170, v146, v133
	v_sub_f16_e64 v161, v129, v133
	v_add_f16_e64 v110, v110, v133
	v_add_f16_e64 v148, v113, v108
	v_fma_f16 v124, -0.5, v124, v107
	v_fmac_f16_e64 v107, -0.5, v144
	v_sub_f16_e64 v144, v138, v129
	v_sub_f16_e64 v153, v111, v108
	v_add_f16_e64 v129, v151, v109
	v_sub_f16_e64 v157, v113, v108
	v_sub_f16_e64 v128, v133, v146
	v_add_f16_e64 v144, v144, v170
	v_add_f16_e64 v170, v109, v111
	s_delay_alu instid0(VALU_DEP_1) | instskip(SKIP_2) | instid1(VALU_DEP_2)
	v_fma_f16 v170, -0.5, v170, v166
	v_fmac_f16_e64 v166, -0.5, v148
	v_sub_f16_e64 v148, v109, v113
	v_fma_f16 v159, 0x3b9c, v172, v166
	s_delay_alu instid0(VALU_DEP_2)
	v_add_f16_e64 v148, v148, v153
	v_sub_f16_e64 v153, v109, v111
	v_sub_f16_e32 v109, v113, v109
	v_add_f16_e64 v113, v129, v111
	v_sub_f16_e32 v111, v108, v111
	v_fmac_f16_e64 v166, 0xbb9c, v172
	v_fma_f16 v155, 0xbb9c, v153, v107
	v_fmac_f16_e64 v107, 0x3b9c, v153
	v_add_f16_e32 v108, v113, v108
	v_add_f16_e32 v109, v109, v111
	v_pack_b32_f16 v111, v126, v130
	v_fma_f16 v126, 0xbb9c, v161, v170
	v_fmac_f16_e64 v170, 0x3b9c, v161
	v_pack_b32_f16 v108, v110, v108
	v_fma_f16 v110, 0x3b9c, v157, v124
	v_fmac_f16_e64 v124, 0xbb9c, v157
	v_add_f16_e64 v113, v127, v128
	v_fmac_f16_e64 v126, 0xb8b4, v172
	v_fmac_f16_e64 v155, 0x38b4, v157
	;; [unrolled: 1-line block ×8, first 2 shown]
	v_fmac_f16_e32 v110, 0x34f2, v113
	v_fmac_f16_e32 v126, 0x34f2, v109
	v_fmac_f16_e64 v155, 0x34f2, v144
	v_fmac_f16_e64 v159, 0x34f2, v148
	;; [unrolled: 1-line block ×4, first 2 shown]
	v_fmac_f16_e32 v124, 0x34f2, v113
	v_fmac_f16_e64 v170, 0x34f2, v109
	v_pack_b32_f16 v110, v110, v126
	ds_store_b32 v139, v111 offset:7260
	ds_store_b32 v139, v125 offset:5720
	;; [unrolled: 1-line block ×3, first 2 shown]
	ds_store_2addr_b32 v252, v112, v110 offset0:148 offset1:203
	v_pack_b32_f16 v108, v155, v159
	v_pack_b32_f16 v107, v107, v166
	;; [unrolled: 1-line block ×3, first 2 shown]
	ds_store_b32 v139, v108 offset:4400
	ds_store_b32 v139, v107 offset:5940
	;; [unrolled: 1-line block ×3, first 2 shown]
	global_wb scope:SCOPE_SE
	s_wait_dscnt 0x0
	s_barrier_signal -1
	s_barrier_wait -1
	global_inv scope:SCOPE_SE
	global_load_b32 v107, v[103:104], off offset:7700
	ds_load_2addr_b32 v[103:104], v139 offset1:55
	s_wait_dscnt 0x0
	v_lshrrev_b32_e32 v109, 16, v103
	s_wait_loadcnt 0x0
	v_lshrrev_b32_e32 v108, 16, v107
	s_delay_alu instid0(VALU_DEP_1) | instskip(NEXT) | instid1(VALU_DEP_3)
	v_mul_f16_e32 v110, v103, v108
	v_mul_f16_e32 v108, v109, v108
	s_delay_alu instid0(VALU_DEP_2) | instskip(NEXT) | instid1(VALU_DEP_2)
	v_fmac_f16_e32 v110, v109, v107
	v_fma_f16 v103, v103, v107, -v108
	s_delay_alu instid0(VALU_DEP_1)
	v_pack_b32_f16 v103, v103, v110
	ds_store_b32 v139, v103
	v_lshlrev_b32_e32 v103, 2, v198
	s_clause 0x4
	global_load_b32 v109, v103, s[0:1] offset:2860
	global_load_b32 v110, v103, s[0:1] offset:3080
	;; [unrolled: 1-line block ×5, first 2 shown]
	ds_load_2addr_b32 v[107:108], v252 offset0:148 offset1:203
	s_wait_dscnt 0x0
	v_lshrrev_b32_e32 v124, 16, v108
	s_wait_loadcnt 0x4
	v_lshrrev_b32_e32 v111, 16, v109
	s_delay_alu instid0(VALU_DEP_1) | instskip(NEXT) | instid1(VALU_DEP_3)
	v_mul_f16_e32 v125, v108, v111
	v_mul_f16_e32 v111, v124, v111
	s_delay_alu instid0(VALU_DEP_2) | instskip(NEXT) | instid1(VALU_DEP_2)
	v_fmac_f16_e32 v125, v124, v109
	v_fma_f16 v111, v108, v109, -v111
	ds_load_2addr_b32 v[108:109], v121 offset0:2 offset1:57
	s_wait_loadcnt 0x3
	v_lshrrev_b32_e32 v124, 16, v110
	s_wait_dscnt 0x0
	v_lshrrev_b32_e32 v126, 16, v108
	s_delay_alu instid0(VALU_DEP_2) | instskip(NEXT) | instid1(VALU_DEP_2)
	v_mul_f16_e32 v127, v108, v124
	v_mul_f16_e32 v124, v126, v124
	s_delay_alu instid0(VALU_DEP_2) | instskip(NEXT) | instid1(VALU_DEP_2)
	v_fmac_f16_e32 v127, v126, v110
	v_fma_f16 v108, v108, v110, -v124
	v_pack_b32_f16 v110, v111, v125
	v_add_nc_u32_e32 v111, 0xa00, v139
	s_delay_alu instid0(VALU_DEP_3)
	v_pack_b32_f16 v108, v108, v127
	ds_store_2addr_b32 v111, v110, v108 offset0:75 offset1:130
	s_clause 0x1
	global_load_b32 v108, v103, s[0:1] offset:7480
	global_load_b32 v124, v103, s[0:1] offset:7260
	ds_load_b32 v110, v139 offset:7480
	s_wait_dscnt 0x0
	v_lshrrev_b32_e32 v111, 16, v110
	s_wait_loadcnt 0x1
	v_lshrrev_b32_e32 v125, 16, v108
	s_delay_alu instid0(VALU_DEP_1) | instskip(SKIP_1) | instid1(VALU_DEP_2)
	v_mul_f16_e32 v126, v111, v125
	v_mul_f16_e32 v125, v110, v125
	v_fma_f16 v126, v110, v108, -v126
	s_delay_alu instid0(VALU_DEP_2)
	v_fmac_f16_e32 v125, v111, v108
	ds_load_2addr_b32 v[110:111], v122 offset0:96 offset1:151
	s_wait_loadcnt 0x0
	v_lshrrev_b32_e32 v108, 16, v124
	s_wait_dscnt 0x0
	v_lshrrev_b32_e32 v127, 16, v111
	s_delay_alu instid0(VALU_DEP_2) | instskip(NEXT) | instid1(VALU_DEP_2)
	v_mul_f16_e64 v128, v111, v108
	v_mul_f16_e32 v108, v127, v108
	s_delay_alu instid0(VALU_DEP_2) | instskip(NEXT) | instid1(VALU_DEP_2)
	v_fmac_f16_e64 v128, v127, v124
	v_fma_f16 v108, v111, v124, -v108
	v_pack_b32_f16 v111, v126, v125
	v_add_nc_u32_e32 v124, 0x1c00, v139
	s_delay_alu instid0(VALU_DEP_3) | instskip(SKIP_3) | instid1(VALU_DEP_2)
	v_pack_b32_f16 v108, v108, v128
	ds_store_2addr_b32 v124, v108, v111 offset0:23 offset1:78
	v_lshrrev_b32_e32 v111, 16, v112
	v_lshrrev_b32_e32 v108, 16, v109
	v_mul_f16_e32 v126, v109, v111
	s_delay_alu instid0(VALU_DEP_2) | instskip(NEXT) | instid1(VALU_DEP_2)
	v_mul_f16_e32 v124, v108, v111
	v_fmac_f16_e32 v126, v108, v112
	global_load_b32 v108, v103, s[0:1] offset:220
	v_fma_f16 v127, v109, v112, -v124
	v_lshrrev_b32_e32 v109, 16, v104
	s_clause 0x5
	global_load_b32 v133, v103, s[0:1] offset:440
	global_load_b32 v134, v103, s[0:1] offset:660
	;; [unrolled: 1-line block ×6, first 2 shown]
	s_wait_loadcnt 0x6
	v_lshrrev_b32_e32 v111, 16, v108
	s_delay_alu instid0(VALU_DEP_1) | instskip(SKIP_1) | instid1(VALU_DEP_2)
	v_mul_f16_e32 v112, v109, v111
	v_mul_f16_e64 v138, v104, v111
	v_fma_f16 v104, v104, v108, -v112
	s_clause 0x2
	global_load_b32 v111, v103, s[0:1] offset:2200
	global_load_b32 v112, v103, s[0:1] offset:2420
	global_load_b32 v142, v103, s[0:1] offset:1980
	v_fmac_f16_e64 v138, v109, v108
	ds_load_2addr_b32 v[108:109], v252 offset0:38 offset1:93
	v_pack_b32_f16 v104, v104, v138
	s_wait_dscnt 0x0
	v_lshrrev_b32_e32 v128, 16, v108
	s_wait_loadcnt 0x2
	v_lshrrev_b32_e32 v125, 16, v111
	s_delay_alu instid0(VALU_DEP_1) | instskip(NEXT) | instid1(VALU_DEP_3)
	v_mul_f16_e64 v144, v108, v125
	v_mul_f16_e64 v125, v128, v125
	s_delay_alu instid0(VALU_DEP_2) | instskip(NEXT) | instid1(VALU_DEP_2)
	v_fmac_f16_e64 v144, v128, v111
	v_fma_f16 v146, v108, v111, -v125
	v_lshrrev_b32_e32 v108, 16, v109
	s_wait_loadcnt 0x1
	v_lshrrev_b32_e32 v111, 16, v112
	s_delay_alu instid0(VALU_DEP_1)
	v_mul_f16_e32 v125, v108, v111
	v_mul_f16_e64 v148, v109, v111
	global_load_b32 v111, v103, s[0:1] offset:1100
	v_fma_f16 v151, v109, v112, -v125
	v_fmac_f16_e64 v148, v108, v112
	ds_load_2addr_b32 v[108:109], v253 offset0:92 offset1:147
	s_wait_dscnt 0x0
	v_lshrrev_b32_e32 v125, 16, v109
	s_wait_loadcnt 0x0
	v_lshrrev_b32_e32 v112, 16, v111
	s_delay_alu instid0(VALU_DEP_1) | instskip(NEXT) | instid1(VALU_DEP_3)
	v_mul_f16_e64 v128, v109, v112
	v_mul_f16_e32 v112, v125, v112
	s_delay_alu instid0(VALU_DEP_2) | instskip(NEXT) | instid1(VALU_DEP_2)
	v_fmac_f16_e64 v128, v125, v111
	v_fma_f16 v109, v109, v111, -v112
	ds_load_2addr_b32 v[111:112], v119 offset0:74 offset1:129
	v_lshrrev_b32_e32 v125, 16, v124
	v_pack_b32_f16 v109, v109, v128
	s_wait_dscnt 0x0
	v_lshrrev_b32_e32 v129, 16, v111
	s_delay_alu instid0(VALU_DEP_3) | instskip(NEXT) | instid1(VALU_DEP_2)
	v_mul_f16_e64 v130, v111, v125
	v_mul_f16_e64 v125, v129, v125
	s_delay_alu instid0(VALU_DEP_2) | instskip(NEXT) | instid1(VALU_DEP_2)
	v_fmac_f16_e64 v130, v129, v124
	v_fma_f16 v111, v111, v124, -v125
	s_delay_alu instid0(VALU_DEP_1)
	v_pack_b32_f16 v111, v111, v130
	ds_store_2addr_b32 v119, v109, v111 offset0:19 offset1:74
	s_clause 0x5
	global_load_b32 v109, v103, s[0:1] offset:4400
	global_load_b32 v111, v103, s[0:1] offset:4620
	;; [unrolled: 1-line block ×6, first 2 shown]
	ds_load_2addr_b32 v[124:125], v120 offset0:76 offset1:131
	s_wait_dscnt 0x0
	v_lshrrev_b32_e32 v129, 16, v124
	s_wait_loadcnt 0x5
	v_lshrrev_b32_e32 v128, 16, v109
	s_delay_alu instid0(VALU_DEP_1) | instskip(NEXT) | instid1(VALU_DEP_3)
	v_mul_f16_e64 v161, v124, v128
	v_mul_f16_e64 v128, v129, v128
	s_delay_alu instid0(VALU_DEP_2) | instskip(NEXT) | instid1(VALU_DEP_2)
	v_fmac_f16_e64 v161, v129, v109
	v_fma_f16 v166, v124, v109, -v128
	v_lshrrev_b32_e32 v109, 16, v125
	s_wait_loadcnt 0x4
	v_lshrrev_b32_e32 v124, 16, v111
	s_delay_alu instid0(VALU_DEP_1) | instskip(SKIP_1) | instid1(VALU_DEP_2)
	v_mul_f16_e64 v128, v109, v124
	v_mul_f16_e64 v168, v125, v124
	v_fma_f16 v170, v125, v111, -v128
	ds_load_2addr_b32 v[124:125], v121 offset0:112 offset1:167
	v_fmac_f16_e64 v168, v109, v111
	v_lshrrev_b32_e32 v109, 16, v113
	s_wait_dscnt 0x0
	v_lshrrev_b32_e32 v111, 16, v124
	s_delay_alu instid0(VALU_DEP_2) | instskip(NEXT) | instid1(VALU_DEP_2)
	v_mul_f16_e64 v128, v124, v109
	v_mul_f16_e32 v109, v111, v109
	s_delay_alu instid0(VALU_DEP_2) | instskip(SKIP_1) | instid1(VALU_DEP_3)
	v_fmac_f16_e64 v128, v111, v113
	v_pack_b32_f16 v111, v127, v126
	v_fma_f16 v109, v124, v113, -v109
	s_delay_alu instid0(VALU_DEP_1)
	v_pack_b32_f16 v109, v109, v128
	ds_store_2addr_b32 v121, v111, v109 offset0:57 offset1:112
	s_clause 0x6
	global_load_b32 v109, v103, s[0:1] offset:5500
	global_load_b32 v111, v103, s[0:1] offset:5720
	;; [unrolled: 1-line block ×7, first 2 shown]
	ds_load_2addr_b32 v[126:127], v131 offset0:40 offset1:95
	s_wait_dscnt 0x0
	v_lshrrev_b32_e32 v129, 16, v127
	s_wait_loadcnt 0x6
	v_lshrrev_b32_e32 v128, 16, v109
	s_delay_alu instid0(VALU_DEP_1) | instskip(NEXT) | instid1(VALU_DEP_3)
	v_mul_f16_e64 v130, v127, v128
	v_mul_f16_e64 v128, v129, v128
	s_delay_alu instid0(VALU_DEP_2) | instskip(NEXT) | instid1(VALU_DEP_2)
	v_fmac_f16_e64 v130, v129, v109
	v_fma_f16 v109, v127, v109, -v128
	ds_load_2addr_b32 v[127:128], v131 offset0:150 offset1:205
	s_wait_loadcnt 0x5
	v_lshrrev_b32_e32 v129, 16, v111
	v_pack_b32_f16 v109, v109, v130
	s_wait_dscnt 0x0
	v_lshrrev_b32_e32 v163, 16, v127
	s_delay_alu instid0(VALU_DEP_3) | instskip(NEXT) | instid1(VALU_DEP_2)
	v_mul_f16_e64 v165, v127, v129
	v_mul_f16_e64 v129, v163, v129
	s_delay_alu instid0(VALU_DEP_2) | instskip(NEXT) | instid1(VALU_DEP_2)
	v_fmac_f16_e64 v165, v163, v111
	v_fma_f16 v111, v127, v111, -v129
	ds_load_2addr_b32 v[129:130], v251 offset0:114 offset1:169
	v_pack_b32_f16 v111, v111, v165
	ds_store_2addr_b32 v131, v109, v111 offset0:95 offset1:150
	global_load_b32 v109, v103, s[0:1] offset:6600
	s_wait_dscnt 0x1
	v_lshrrev_b32_e32 v127, 16, v129
	s_wait_loadcnt 0x0
	v_lshrrev_b32_e32 v111, 16, v109
	s_delay_alu instid0(VALU_DEP_1) | instskip(NEXT) | instid1(VALU_DEP_3)
	v_mul_f16_e64 v163, v129, v111
	v_mul_f16_e32 v111, v127, v111
	s_delay_alu instid0(VALU_DEP_2) | instskip(NEXT) | instid1(VALU_DEP_2)
	v_fmac_f16_e64 v163, v127, v109
	v_fma_f16 v127, v129, v109, -v111
	v_lshrrev_b32_e32 v111, 16, v113
	v_lshrrev_b32_e32 v109, 16, v130
	s_delay_alu instid0(VALU_DEP_2) | instskip(NEXT) | instid1(VALU_DEP_2)
	v_mul_f16_e64 v165, v130, v111
	v_mul_f16_e64 v129, v109, v111
	v_lshrrev_b32_e32 v111, 16, v135
	s_delay_alu instid0(VALU_DEP_3) | instskip(SKIP_1) | instid1(VALU_DEP_4)
	v_fmac_f16_e64 v165, v109, v113
	v_lshrrev_b32_e32 v109, 16, v112
	v_fma_f16 v129, v130, v113, -v129
	s_delay_alu instid0(VALU_DEP_4) | instskip(NEXT) | instid1(VALU_DEP_3)
	v_mul_f16_e64 v130, v112, v111
	v_mul_f16_e32 v113, v109, v111
	s_delay_alu instid0(VALU_DEP_2) | instskip(SKIP_1) | instid1(VALU_DEP_3)
	v_fmac_f16_e64 v130, v109, v135
	v_lshrrev_b32_e32 v109, 16, v133
	v_fma_f16 v113, v112, v135, -v113
	ds_load_2addr_b32 v[111:112], v139 offset0:110 offset1:165
	s_wait_dscnt 0x0
	v_lshrrev_b32_e32 v135, 16, v111
	v_mul_f16_e64 v167, v111, v109
	s_delay_alu instid0(VALU_DEP_2) | instskip(NEXT) | instid1(VALU_DEP_2)
	v_mul_f16_e64 v109, v135, v109
	v_fmac_f16_e64 v167, v135, v133
	s_delay_alu instid0(VALU_DEP_2) | instskip(NEXT) | instid1(VALU_DEP_1)
	v_fma_f16 v109, v111, v133, -v109
	v_pack_b32_f16 v109, v109, v167
	ds_store_2addr_b32 v139, v104, v109 offset0:55 offset1:110
	v_lshrrev_b32_e32 v104, 16, v107
	v_lshrrev_b32_e32 v109, 16, v132
	s_delay_alu instid0(VALU_DEP_1) | instskip(SKIP_1) | instid1(VALU_DEP_2)
	v_mul_f16_e32 v111, v104, v109
	v_mul_f16_e32 v109, v107, v109
	v_fma_f16 v107, v107, v132, -v111
	s_delay_alu instid0(VALU_DEP_2)
	v_fmac_f16_e64 v109, v104, v132
	s_clause 0x1
	global_load_b32 v104, v103, s[0:1] offset:3740
	global_load_b32 v111, v103, s[0:1] offset:3960
	v_lshrrev_b32_e32 v103, 16, v125
	s_wait_loadcnt 0x1
	v_lshrrev_b32_e32 v132, 16, v104
	s_delay_alu instid0(VALU_DEP_1) | instskip(SKIP_1) | instid1(VALU_DEP_2)
	v_mul_f16_e64 v133, v103, v132
	v_mul_f16_e64 v132, v125, v132
	v_fma_f16 v125, v125, v104, -v133
	s_delay_alu instid0(VALU_DEP_2) | instskip(SKIP_2) | instid1(VALU_DEP_2)
	v_fmac_f16_e64 v132, v103, v104
	v_lshrrev_b32_e32 v104, 16, v172
	v_lshrrev_b32_e32 v103, 16, v128
	v_mul_f16_e64 v135, v128, v104
	s_delay_alu instid0(VALU_DEP_2) | instskip(SKIP_1) | instid1(VALU_DEP_3)
	v_mul_f16_e64 v133, v103, v104
	v_pack_b32_f16 v104, v107, v109
	v_fmac_f16_e64 v135, v103, v172
	v_pack_b32_f16 v103, v151, v148
	s_delay_alu instid0(VALU_DEP_4) | instskip(SKIP_3) | instid1(VALU_DEP_2)
	v_fma_f16 v128, v128, v172, -v133
	ds_store_2addr_b32 v252, v103, v104 offset0:93 offset1:148
	v_lshrrev_b32_e32 v104, 16, v124
	v_lshrrev_b32_e32 v103, 16, v110
	v_mul_f16_e32 v109, v110, v104
	s_delay_alu instid0(VALU_DEP_2) | instskip(NEXT) | instid1(VALU_DEP_2)
	v_mul_f16_e32 v107, v103, v104
	v_fmac_f16_e32 v109, v103, v124
	ds_load_2addr_b32 v[103:104], v120 offset0:186 offset1:241
	v_fma_f16 v107, v110, v124, -v107
	v_lshrrev_b32_e32 v110, 16, v153
	s_delay_alu instid0(VALU_DEP_2) | instskip(SKIP_2) | instid1(VALU_DEP_3)
	v_pack_b32_f16 v107, v107, v109
	s_wait_dscnt 0x0
	v_lshrrev_b32_e32 v124, 16, v103
	v_mul_f16_e64 v133, v103, v110
	s_delay_alu instid0(VALU_DEP_2) | instskip(NEXT) | instid1(VALU_DEP_2)
	v_mul_f16_e32 v110, v124, v110
	v_fmac_f16_e64 v133, v124, v153
	s_delay_alu instid0(VALU_DEP_2) | instskip(SKIP_1) | instid1(VALU_DEP_2)
	v_fma_f16 v103, v103, v153, -v110
	v_pack_b32_f16 v110, v170, v168
	v_pack_b32_f16 v103, v103, v133
	ds_store_2addr_b32 v120, v110, v103 offset0:131 offset1:186
	v_pack_b32_f16 v103, v129, v165
	ds_store_2addr_b32 v251, v103, v107 offset0:169 offset1:224
	v_lshrrev_b32_e32 v103, 16, v112
	v_lshrrev_b32_e32 v107, 16, v134
	s_delay_alu instid0(VALU_DEP_1) | instskip(SKIP_1) | instid1(VALU_DEP_2)
	v_mul_f16_e32 v109, v103, v107
	v_mul_f16_e32 v124, v112, v107
	v_fma_f16 v129, v112, v134, -v109
	ds_load_2addr_b32 v[109:110], v119 offset0:184 offset1:239
	v_fmac_f16_e64 v124, v103, v134
	v_lshrrev_b32_e32 v103, 16, v136
	s_wait_dscnt 0x0
	v_lshrrev_b32_e32 v107, 16, v109
	s_delay_alu instid0(VALU_DEP_2) | instskip(NEXT) | instid1(VALU_DEP_2)
	v_mul_f16_e32 v112, v109, v103
	v_mul_f16_e32 v103, v107, v103
	s_delay_alu instid0(VALU_DEP_2) | instskip(SKIP_1) | instid1(VALU_DEP_3)
	v_fmac_f16_e64 v112, v107, v136
	v_pack_b32_f16 v107, v113, v130
	v_fma_f16 v103, v109, v136, -v103
	s_delay_alu instid0(VALU_DEP_1) | instskip(SKIP_3) | instid1(VALU_DEP_1)
	v_pack_b32_f16 v103, v103, v112
	ds_store_2addr_b32 v119, v107, v103 offset0:129 offset1:184
	v_lshrrev_b32_e32 v103, 16, v104
	v_lshrrev_b32_e32 v107, 16, v155
	v_mul_f16_e32 v109, v103, v107
	v_mul_f16_e32 v113, v104, v107
	s_wait_loadcnt 0x0
	v_lshrrev_b32_e32 v107, 16, v111
	s_delay_alu instid0(VALU_DEP_3) | instskip(NEXT) | instid1(VALU_DEP_3)
	v_fma_f16 v109, v104, v155, -v109
	v_fmac_f16_e64 v113, v103, v155
	ds_load_2addr_b32 v[103:104], v123 offset0:94 offset1:149
	s_wait_dscnt 0x0
	v_lshrrev_b32_e32 v112, 16, v103
	v_mul_f16_e64 v130, v103, v107
	s_delay_alu instid0(VALU_DEP_2) | instskip(NEXT) | instid1(VALU_DEP_2)
	v_mul_f16_e32 v107, v112, v107
	v_fmac_f16_e64 v130, v112, v111
	s_delay_alu instid0(VALU_DEP_2)
	v_fma_f16 v103, v103, v111, -v107
	ds_load_2addr_b32 v[111:112], v251 offset0:4 offset1:59
	v_pack_b32_f16 v107, v125, v132
	v_pack_b32_f16 v103, v103, v130
	ds_store_2addr_b32 v121, v107, v103 offset0:167 offset1:222
	v_lshrrev_b32_e32 v103, 16, v254
	s_wait_dscnt 0x1
	v_lshrrev_b32_e32 v107, 16, v111
	s_delay_alu instid0(VALU_DEP_2) | instskip(NEXT) | instid1(VALU_DEP_2)
	v_mul_f16_e32 v125, v111, v103
	v_mul_f16_e32 v103, v107, v103
	s_delay_alu instid0(VALU_DEP_2) | instskip(SKIP_1) | instid1(VALU_DEP_3)
	v_fmac_f16_e64 v125, v107, v254
	v_add_nc_u32_e32 v107, 0x1600, v139
	v_fma_f16 v103, v111, v254, -v103
	v_pack_b32_f16 v111, v128, v135
	v_add_nc_u32_e32 v254, 0x1200, v139
	s_delay_alu instid0(VALU_DEP_3) | instskip(SKIP_3) | instid1(VALU_DEP_1)
	v_pack_b32_f16 v103, v103, v125
	ds_store_2addr_b32 v107, v111, v103 offset0:77 offset1:132
	v_lshrrev_b32_e32 v103, 16, v108
	v_lshrrev_b32_e32 v111, 16, v137
	v_mul_f16_e32 v125, v103, v111
	v_mul_f16_e32 v111, v108, v111
	s_delay_alu instid0(VALU_DEP_2) | instskip(NEXT) | instid1(VALU_DEP_2)
	v_fma_f16 v108, v108, v137, -v125
	v_fmac_f16_e64 v111, v103, v137
	v_lshrrev_b32_e32 v103, 16, v110
	v_lshrrev_b32_e32 v125, 16, v142
	s_delay_alu instid0(VALU_DEP_3) | instskip(NEXT) | instid1(VALU_DEP_2)
	v_pack_b32_f16 v108, v108, v111
	v_mul_f16_e64 v128, v103, v125
	v_mul_f16_e32 v125, v110, v125
	s_delay_alu instid0(VALU_DEP_2) | instskip(NEXT) | instid1(VALU_DEP_2)
	v_fma_f16 v110, v110, v142, -v128
	v_fmac_f16_e64 v125, v103, v142
	v_pack_b32_f16 v103, v129, v124
	s_delay_alu instid0(VALU_DEP_2)
	v_pack_b32_f16 v110, v110, v125
	ds_store_2addr_b32 v139, v103, v108 offset0:165 offset1:220
	v_pack_b32_f16 v103, v146, v144
	v_add_nc_u32_e32 v108, 0x600, v139
	v_lshrrev_b32_e32 v125, 16, v255
	ds_store_2addr_b32 v108, v110, v103 offset0:111 offset1:166
	v_lshrrev_b32_e32 v103, 16, v104
	v_lshrrev_b32_e32 v110, 16, v159
	s_delay_alu instid0(VALU_DEP_1) | instskip(SKIP_1) | instid1(VALU_DEP_2)
	v_mul_f16_e32 v111, v103, v110
	v_mul_f16_e32 v110, v104, v110
	v_fma_f16 v104, v104, v159, -v111
	s_delay_alu instid0(VALU_DEP_2) | instskip(SKIP_2) | instid1(VALU_DEP_3)
	v_fmac_f16_e64 v110, v103, v159
	v_lshrrev_b32_e32 v103, 16, v126
	v_lshrrev_b32_e32 v111, 16, v157
	v_pack_b32_f16 v104, v104, v110
	s_delay_alu instid0(VALU_DEP_2) | instskip(SKIP_1) | instid1(VALU_DEP_2)
	v_mul_f16_e32 v124, v103, v111
	v_mul_f16_e32 v111, v126, v111
	v_fma_f16 v124, v126, v157, -v124
	s_delay_alu instid0(VALU_DEP_2) | instskip(SKIP_1) | instid1(VALU_DEP_1)
	v_fmac_f16_e64 v111, v103, v157
	v_lshrrev_b32_e32 v103, 16, v112
	v_mul_f16_e32 v126, v103, v125
	v_mul_f16_e32 v125, v112, v125
	s_delay_alu instid0(VALU_DEP_2) | instskip(NEXT) | instid1(VALU_DEP_2)
	v_fma_f16 v112, v112, v255, -v126
	v_fmac_f16_e64 v125, v103, v255
	v_pack_b32_f16 v103, v166, v161
	ds_store_2addr_b32 v120, v104, v103 offset0:21 offset1:76
	v_pack_b32_f16 v103, v109, v113
	v_pack_b32_f16 v104, v124, v111
	ds_store_2addr_b32 v254, v103, v104 offset0:113 offset1:168
	v_pack_b32_f16 v103, v127, v163
	v_pack_b32_f16 v104, v112, v125
	ds_store_2addr_b32 v251, v104, v103 offset0:59 offset1:114
	global_wb scope:SCOPE_SE
	s_wait_dscnt 0x0
	s_barrier_signal -1
	s_barrier_wait -1
	global_inv scope:SCOPE_SE
	ds_load_2addr_b32 v[103:104], v252 offset0:38 offset1:93
	ds_load_2addr_b32 v[109:110], v131 offset0:150 offset1:205
	;; [unrolled: 1-line block ×3, first 2 shown]
	s_wait_dscnt 0x1
	v_pk_add_f16 v129, v104, v109
	v_pk_add_f16 v130, v104, v109 neg_lo:[0,1] neg_hi:[0,1]
	s_wait_dscnt 0x0
	v_pk_add_f16 v132, v111, v110
	v_pk_add_f16 v133, v111, v110 neg_lo:[0,1] neg_hi:[0,1]
	ds_load_2addr_b32 v[109:110], v251 offset0:4 offset1:59
	s_wait_dscnt 0x0
	v_pk_add_f16 v134, v112, v109
	v_pk_add_f16 v135, v112, v109 neg_lo:[0,1] neg_hi:[0,1]
	ds_load_2addr_b32 v[111:112], v121 offset0:2 offset1:57
	;; [unrolled: 4-line block ×7, first 2 shown]
	s_wait_dscnt 0x0
	v_pk_add_f16 v111, v103, v110
	v_pk_add_f16 v123, v103, v110 neg_lo:[0,1] neg_hi:[0,1]
	v_pk_add_f16 v153, v112, v109
	v_pk_add_f16 v155, v109, v112 neg_lo:[0,1] neg_hi:[0,1]
	ds_load_2addr_b32 v[103:104], v251 offset0:114 offset1:169
	ds_load_2addr_b32 v[109:110], v253 offset0:92 offset1:147
	s_wait_dscnt 0x0
	v_pk_add_f16 v112, v110, v103
	v_pk_add_f16 v103, v110, v103 neg_lo:[0,1] neg_hi:[0,1]
	v_pk_add_f16 v110, v124, v123
	s_delay_alu instid0(VALU_DEP_3) | instskip(SKIP_1) | instid1(VALU_DEP_2)
	v_pk_add_f16 v125, v111, v112
	v_pk_add_f16 v126, v112, v113 neg_lo:[0,1] neg_hi:[0,1]
	v_pk_add_f16 v125, v113, v125
	v_pk_add_f16 v113, v113, v111 neg_lo:[0,1] neg_hi:[0,1]
	v_pk_add_f16 v111, v111, v112 neg_lo:[0,1] neg_hi:[0,1]
	v_pk_add_f16 v112, v110, v103
	v_pk_add_f16 v110, v103, v124 neg_lo:[0,1] neg_hi:[0,1]
	v_pk_add_f16 v124, v124, v123 neg_lo:[0,1] neg_hi:[0,1]
	;; [unrolled: 1-line block ×3, first 2 shown]
	v_pk_mul_f16 v123, 0x3a52, v126 op_sel_hi:[0,1]
	v_pk_mul_f16 v111, 0x39e0, v111 op_sel_hi:[0,1]
	s_delay_alu instid0(VALU_DEP_3) | instskip(NEXT) | instid1(VALU_DEP_3)
	v_pk_mul_f16 v103, 0xbb00, v103 op_sel_hi:[0,1]
	v_pk_fma_f16 v126, 0x2b26, v113, v123 op_sel_hi:[0,1,1]
	s_delay_alu instid0(VALU_DEP_3) | instskip(SKIP_4) | instid1(VALU_DEP_3)
	v_pk_add_f16 v123, v123, v111 op_sel:[1,1] op_sel_hi:[0,0] neg_lo:[1,1] neg_hi:[1,1]
	v_pk_fma_f16 v113, 0x2b26, v113, v111 op_sel_hi:[0,1,1] neg_lo:[0,1,0] neg_hi:[0,1,0]
	v_pk_mul_f16 v111, 0xb574, v110 op_sel_hi:[0,1]
	v_pk_fma_f16 v128, 0xb574, v110, v103 op_sel_hi:[0,1,1] neg_lo:[0,1,1] neg_hi:[0,1,1]
	v_pk_fma_f16 v103, 0x3846, v124, v103 op_sel_hi:[0,1,1] neg_lo:[0,1,0] neg_hi:[0,1,0]
	v_pk_fma_f16 v127, 0x3846, v124, v111 op_sel_hi:[0,1,1]
	ds_load_2addr_b32 v[110:111], v139 offset1:55
	v_pk_fma_f16 v103, 0xb70e, v112, v103 op_sel_hi:[0,1,1]
	s_wait_dscnt 0x0
	v_pk_add_f16 v110, v110, v125
	s_delay_alu instid0(VALU_DEP_1) | instskip(NEXT) | instid1(VALU_DEP_1)
	v_pk_fma_f16 v124, 0x3cab, v125, v110 op_sel_hi:[0,1,1] neg_lo:[0,1,0] neg_hi:[0,1,0]
	v_pk_add_f16 v125, v126, v124
	v_pk_add_f16 v123, v123, v124 op_sel:[0,1] op_sel_hi:[1,0]
	v_pk_add_f16 v113, v113, v124
	v_pk_fma_f16 v124, 0xb70e, v112, v127 op_sel_hi:[0,1,1]
	v_pk_fma_f16 v126, 0xb70e, v112, v128 op_sel_hi:[0,1,1]
	s_delay_alu instid0(VALU_DEP_3) | instskip(NEXT) | instid1(VALU_DEP_3)
	v_pk_add_f16 v165, v113, v103 op_sel:[0,1] op_sel_hi:[1,0] neg_lo:[0,1] neg_hi:[0,1]
	v_pk_add_f16 v157, v125, v124 op_sel:[0,1] op_sel_hi:[1,0]
	v_pk_add_f16 v159, v125, v124 op_sel:[0,1] op_sel_hi:[1,0] neg_lo:[0,1] neg_hi:[0,1]
	s_delay_alu instid0(VALU_DEP_4)
	v_pk_add_f16 v161, v123, v126
	v_pk_add_f16 v163, v123, v126 neg_lo:[0,1] neg_hi:[0,1]
	v_pk_add_f16 v103, v113, v103 op_sel:[0,1] op_sel_hi:[1,0]
	ds_load_b32 v166, v139 offset:7480
	ds_load_2addr_b32 v[112:113], v119 offset0:74 offset1:129
	ds_load_2addr_b32 v[123:124], v122 offset0:96 offset1:151
	;; [unrolled: 1-line block ×4, first 2 shown]
	v_bfi_b32 v167, 0xffff, v157, v159
	global_wb scope:SCOPE_SE
	s_wait_dscnt 0x0
	s_barrier_signal -1
	s_barrier_wait -1
	global_inv scope:SCOPE_SE
	v_alignbit_b32 v168, v163, v161, 16
	v_bfi_b32 v170, 0xffff, v165, v103
	ds_store_2addr_b32 v118, v110, v167 offset1:1
	v_bfi_b32 v103, 0xffff, v103, v165
	v_alignbit_b32 v110, v161, v163, 16
	v_bfi_b32 v157, 0xffff, v159, v157
	ds_store_2addr_b32 v118, v168, v170 offset0:2 offset1:3
	ds_store_2addr_b32 v118, v103, v110 offset0:4 offset1:5
	ds_store_b32 v118, v157 offset:24
	v_pk_add_f16 v118, v138, v129 neg_lo:[0,1] neg_hi:[0,1]
	v_pk_add_f16 v103, v112, v104
	v_pk_add_f16 v104, v112, v104 neg_lo:[0,1] neg_hi:[0,1]
	s_delay_alu instid0(VALU_DEP_2) | instskip(SKIP_3) | instid1(VALU_DEP_4)
	v_pk_add_f16 v110, v129, v103
	v_pk_add_f16 v112, v103, v138 neg_lo:[0,1] neg_hi:[0,1]
	v_pk_add_f16 v103, v129, v103 neg_lo:[0,1] neg_hi:[0,1]
	v_pk_add_f16 v129, v142, v130
	v_pk_add_f16 v110, v138, v110
	v_pk_add_f16 v138, v104, v142 neg_lo:[0,1] neg_hi:[0,1]
	v_pk_mul_f16 v112, 0x3a52, v112 op_sel_hi:[0,1]
	v_pk_mul_f16 v103, 0x39e0, v103 op_sel_hi:[0,1]
	v_pk_add_f16 v129, v129, v104
	v_pk_add_f16 v111, v111, v110
	v_pk_add_f16 v142, v142, v130 neg_lo:[0,1] neg_hi:[0,1]
	v_pk_add_f16 v104, v130, v104 neg_lo:[0,1] neg_hi:[0,1]
	v_pk_fma_f16 v130, 0x2b26, v118, v112 op_sel_hi:[0,1,1]
	v_pk_add_f16 v112, v112, v103 op_sel:[1,1] op_sel_hi:[0,0] neg_lo:[1,1] neg_hi:[1,1]
	v_pk_fma_f16 v103, 0x2b26, v118, v103 op_sel_hi:[0,1,1] neg_lo:[0,1,0] neg_hi:[0,1,0]
	v_pk_mul_f16 v118, 0xb574, v138 op_sel_hi:[0,1]
	v_pk_mul_f16 v104, 0xbb00, v104 op_sel_hi:[0,1]
	v_pk_fma_f16 v110, 0x3cab, v110, v111 op_sel_hi:[0,1,1] neg_lo:[0,1,0] neg_hi:[0,1,0]
	s_delay_alu instid0(VALU_DEP_3) | instskip(NEXT) | instid1(VALU_DEP_3)
	v_pk_fma_f16 v118, 0x3846, v142, v118 op_sel_hi:[0,1,1]
	v_pk_fma_f16 v138, 0xb574, v138, v104 op_sel_hi:[0,1,1] neg_lo:[0,1,1] neg_hi:[0,1,1]
	v_pk_fma_f16 v104, 0x3846, v142, v104 op_sel_hi:[0,1,1] neg_lo:[0,1,0] neg_hi:[0,1,0]
	s_delay_alu instid0(VALU_DEP_4)
	v_pk_add_f16 v130, v130, v110
	v_pk_add_f16 v112, v112, v110 op_sel:[0,1] op_sel_hi:[1,0]
	v_pk_add_f16 v103, v103, v110
	v_pk_fma_f16 v110, 0xb70e, v129, v118 op_sel_hi:[0,1,1]
	v_pk_fma_f16 v118, 0xb70e, v129, v138 op_sel_hi:[0,1,1]
	;; [unrolled: 1-line block ×3, first 2 shown]
	s_delay_alu instid0(VALU_DEP_3) | instskip(SKIP_1) | instid1(VALU_DEP_4)
	v_pk_add_f16 v129, v130, v110 op_sel:[0,1] op_sel_hi:[1,0]
	v_pk_add_f16 v110, v130, v110 op_sel:[0,1] op_sel_hi:[1,0] neg_lo:[0,1] neg_hi:[0,1]
	v_pk_add_f16 v130, v112, v118
	v_pk_add_f16 v112, v112, v118 neg_lo:[0,1] neg_hi:[0,1]
	v_pk_add_f16 v118, v103, v104 op_sel:[0,1] op_sel_hi:[1,0] neg_lo:[0,1] neg_hi:[0,1]
	v_pk_add_f16 v103, v103, v104 op_sel:[0,1] op_sel_hi:[1,0]
	v_bfi_b32 v104, 0xffff, v129, v110
	v_bfi_b32 v110, 0xffff, v110, v129
	v_alignbit_b32 v138, v112, v130, 16
	s_delay_alu instid0(VALU_DEP_4)
	v_bfi_b32 v142, 0xffff, v118, v103
	ds_store_2addr_b32 v117, v111, v104 offset1:1
	v_bfi_b32 v103, 0xffff, v103, v118
	v_alignbit_b32 v104, v130, v112, 16
	v_pk_add_f16 v112, v144, v132 neg_lo:[0,1] neg_hi:[0,1]
	ds_store_2addr_b32 v117, v138, v142 offset0:2 offset1:3
	ds_store_2addr_b32 v117, v103, v104 offset0:4 offset1:5
	ds_store_b32 v117, v110 offset:24
	v_pk_add_f16 v103, v113, v123
	v_pk_add_f16 v104, v113, v123 neg_lo:[0,1] neg_hi:[0,1]
	v_pk_add_f16 v113, v146, v133
	v_pk_add_f16 v118, v146, v133 neg_lo:[0,1] neg_hi:[0,1]
	s_delay_alu instid0(VALU_DEP_4)
	v_pk_add_f16 v110, v132, v103
	v_pk_add_f16 v111, v103, v144 neg_lo:[0,1] neg_hi:[0,1]
	v_pk_add_f16 v103, v132, v103 neg_lo:[0,1] neg_hi:[0,1]
	v_pk_add_f16 v113, v113, v104
	v_pk_add_f16 v117, v104, v146 neg_lo:[0,1] neg_hi:[0,1]
	v_pk_add_f16 v104, v133, v104 neg_lo:[0,1] neg_hi:[0,1]
	v_pk_mul_f16 v111, 0x3a52, v111 op_sel_hi:[0,1]
	v_pk_mul_f16 v103, 0x39e0, v103 op_sel_hi:[0,1]
	v_pk_add_f16 v110, v144, v110
	s_delay_alu instid0(VALU_DEP_4) | instskip(NEXT) | instid1(VALU_DEP_4)
	v_pk_mul_f16 v104, 0xbb00, v104 op_sel_hi:[0,1]
	v_pk_fma_f16 v123, 0x2b26, v112, v111 op_sel_hi:[0,1,1]
	s_delay_alu instid0(VALU_DEP_4) | instskip(SKIP_4) | instid1(VALU_DEP_3)
	v_pk_add_f16 v111, v111, v103 op_sel:[1,1] op_sel_hi:[0,0] neg_lo:[1,1] neg_hi:[1,1]
	v_pk_fma_f16 v103, 0x2b26, v112, v103 op_sel_hi:[0,1,1] neg_lo:[0,1,0] neg_hi:[0,1,0]
	v_pk_mul_f16 v112, 0xb574, v117 op_sel_hi:[0,1]
	v_pk_fma_f16 v117, 0xb574, v117, v104 op_sel_hi:[0,1,1] neg_lo:[0,1,1] neg_hi:[0,1,1]
	v_pk_fma_f16 v104, 0x3846, v118, v104 op_sel_hi:[0,1,1] neg_lo:[0,1,0] neg_hi:[0,1,0]
	v_pk_fma_f16 v112, 0x3846, v118, v112 op_sel_hi:[0,1,1]
	v_pk_add_f16 v118, v125, v110
	s_delay_alu instid0(VALU_DEP_3) | instskip(NEXT) | instid1(VALU_DEP_2)
	v_pk_fma_f16 v104, 0xb70e, v113, v104 op_sel_hi:[0,1,1]
	v_pk_fma_f16 v110, 0x3cab, v110, v118 op_sel_hi:[0,1,1] neg_lo:[0,1,0] neg_hi:[0,1,0]
	s_delay_alu instid0(VALU_DEP_1) | instskip(SKIP_4) | instid1(VALU_DEP_2)
	v_pk_add_f16 v123, v123, v110
	v_pk_add_f16 v111, v111, v110 op_sel:[0,1] op_sel_hi:[1,0]
	v_pk_add_f16 v103, v103, v110
	v_pk_fma_f16 v110, 0xb70e, v113, v112 op_sel_hi:[0,1,1]
	v_pk_fma_f16 v112, 0xb70e, v113, v117 op_sel_hi:[0,1,1]
	v_pk_add_f16 v113, v123, v110 op_sel:[0,1] op_sel_hi:[1,0]
	v_pk_add_f16 v110, v123, v110 op_sel:[0,1] op_sel_hi:[1,0] neg_lo:[0,1] neg_hi:[0,1]
	s_delay_alu instid0(VALU_DEP_3)
	v_pk_add_f16 v117, v111, v112
	v_pk_add_f16 v111, v111, v112 neg_lo:[0,1] neg_hi:[0,1]
	v_pk_add_f16 v112, v103, v104 op_sel:[0,1] op_sel_hi:[1,0] neg_lo:[0,1] neg_hi:[0,1]
	v_pk_add_f16 v103, v103, v104 op_sel:[0,1] op_sel_hi:[1,0]
	v_bfi_b32 v104, 0xffff, v113, v110
	v_bfi_b32 v110, 0xffff, v110, v113
	v_alignbit_b32 v123, v111, v117, 16
	s_delay_alu instid0(VALU_DEP_4)
	v_bfi_b32 v125, 0xffff, v112, v103
	ds_store_2addr_b32 v114, v118, v104 offset1:1
	v_bfi_b32 v103, 0xffff, v103, v112
	v_alignbit_b32 v104, v117, v111, 16
	v_pk_add_f16 v117, v148, v134 neg_lo:[0,1] neg_hi:[0,1]
	ds_store_2addr_b32 v114, v123, v125 offset0:2 offset1:3
	ds_store_2addr_b32 v114, v103, v104 offset0:4 offset1:5
	ds_store_b32 v114, v110 offset:24
	v_pk_add_f16 v103, v127, v124
	v_pk_add_f16 v104, v127, v124 neg_lo:[0,1] neg_hi:[0,1]
	v_pk_add_f16 v118, v151, v135
	v_pk_add_f16 v124, v151, v135 neg_lo:[0,1] neg_hi:[0,1]
	v_pk_add_f16 v110, v128, v166
	v_pk_add_f16 v112, v134, v103
	v_pk_add_f16 v114, v103, v148 neg_lo:[0,1] neg_hi:[0,1]
	v_pk_add_f16 v103, v134, v103 neg_lo:[0,1] neg_hi:[0,1]
	;; [unrolled: 1-line block ×3, first 2 shown]
	v_pk_add_f16 v118, v118, v104
	v_pk_add_f16 v112, v148, v112
	v_pk_mul_f16 v114, 0x3a52, v114 op_sel_hi:[0,1]
	v_pk_mul_f16 v103, 0x39e0, v103 op_sel_hi:[0,1]
	v_pk_add_f16 v104, v135, v104 neg_lo:[0,1] neg_hi:[0,1]
	v_pk_add_f16 v111, v128, v166 neg_lo:[0,1] neg_hi:[0,1]
	v_pk_add_f16 v113, v126, v112
	v_pk_fma_f16 v125, 0x2b26, v117, v114 op_sel_hi:[0,1,1]
	v_pk_add_f16 v114, v114, v103 op_sel:[1,1] op_sel_hi:[0,0] neg_lo:[1,1] neg_hi:[1,1]
	v_pk_fma_f16 v103, 0x2b26, v117, v103 op_sel_hi:[0,1,1] neg_lo:[0,1,0] neg_hi:[0,1,0]
	v_pk_mul_f16 v117, 0xb574, v123 op_sel_hi:[0,1]
	v_pk_mul_f16 v104, 0xbb00, v104 op_sel_hi:[0,1]
	v_pk_fma_f16 v112, 0x3cab, v112, v113 op_sel_hi:[0,1,1] neg_lo:[0,1,0] neg_hi:[0,1,0]
	s_delay_alu instid0(VALU_DEP_3) | instskip(NEXT) | instid1(VALU_DEP_3)
	v_pk_fma_f16 v117, 0x3846, v124, v117 op_sel_hi:[0,1,1]
	v_pk_fma_f16 v123, 0xb574, v123, v104 op_sel_hi:[0,1,1] neg_lo:[0,1,1] neg_hi:[0,1,1]
	v_pk_fma_f16 v104, 0x3846, v124, v104 op_sel_hi:[0,1,1] neg_lo:[0,1,0] neg_hi:[0,1,0]
	s_delay_alu instid0(VALU_DEP_4)
	v_pk_add_f16 v124, v125, v112
	v_pk_add_f16 v114, v114, v112 op_sel:[0,1] op_sel_hi:[1,0]
	v_pk_add_f16 v103, v103, v112
	v_pk_fma_f16 v112, 0xb70e, v118, v117 op_sel_hi:[0,1,1]
	v_pk_fma_f16 v117, 0xb70e, v118, v123 op_sel_hi:[0,1,1]
	;; [unrolled: 1-line block ×3, first 2 shown]
	s_delay_alu instid0(VALU_DEP_3) | instskip(SKIP_1) | instid1(VALU_DEP_4)
	v_pk_add_f16 v118, v124, v112 op_sel:[0,1] op_sel_hi:[1,0]
	v_pk_add_f16 v112, v124, v112 op_sel:[0,1] op_sel_hi:[1,0] neg_lo:[0,1] neg_hi:[0,1]
	v_pk_add_f16 v123, v114, v117
	v_pk_add_f16 v114, v114, v117 neg_lo:[0,1] neg_hi:[0,1]
	v_pk_add_f16 v117, v103, v104 op_sel:[0,1] op_sel_hi:[1,0] neg_lo:[0,1] neg_hi:[0,1]
	v_pk_add_f16 v103, v103, v104 op_sel:[0,1] op_sel_hi:[1,0]
	v_bfi_b32 v104, 0xffff, v118, v112
	v_bfi_b32 v112, 0xffff, v112, v118
	v_alignbit_b32 v124, v114, v123, 16
	s_delay_alu instid0(VALU_DEP_4)
	v_bfi_b32 v125, 0xffff, v117, v103
	ds_store_2addr_b32 v116, v113, v104 offset1:1
	v_bfi_b32 v103, 0xffff, v103, v117
	v_alignbit_b32 v104, v123, v114, 16
	v_pk_add_f16 v113, v155, v137
	ds_store_2addr_b32 v116, v124, v125 offset0:2 offset1:3
	ds_store_2addr_b32 v116, v103, v104 offset0:4 offset1:5
	ds_store_b32 v116, v112 offset:24
	v_pk_add_f16 v103, v136, v110
	v_pk_add_f16 v104, v110, v153 neg_lo:[0,1] neg_hi:[0,1]
	v_pk_add_f16 v110, v136, v110 neg_lo:[0,1] neg_hi:[0,1]
	;; [unrolled: 1-line block ×3, first 2 shown]
	v_pk_add_f16 v113, v113, v111
	v_pk_add_f16 v103, v153, v103
	v_pk_add_f16 v114, v111, v155 neg_lo:[0,1] neg_hi:[0,1]
	v_pk_add_f16 v111, v137, v111 neg_lo:[0,1] neg_hi:[0,1]
	v_pk_mul_f16 v104, 0x3a52, v104 op_sel_hi:[0,1]
	v_pk_mul_f16 v110, 0x39e0, v110 op_sel_hi:[0,1]
	v_pk_add_f16 v109, v109, v103
	v_pk_add_f16 v116, v155, v137 neg_lo:[0,1] neg_hi:[0,1]
	v_pk_mul_f16 v111, 0xbb00, v111 op_sel_hi:[0,1]
	v_pk_fma_f16 v117, 0x2b26, v112, v104 op_sel_hi:[0,1,1]
	v_pk_add_f16 v104, v104, v110 op_sel:[1,1] op_sel_hi:[0,0] neg_lo:[1,1] neg_hi:[1,1]
	v_pk_fma_f16 v110, 0x2b26, v112, v110 op_sel_hi:[0,1,1] neg_lo:[0,1,0] neg_hi:[0,1,0]
	v_pk_mul_f16 v112, 0xb574, v114 op_sel_hi:[0,1]
	v_pk_fma_f16 v114, 0xb574, v114, v111 op_sel_hi:[0,1,1] neg_lo:[0,1,1] neg_hi:[0,1,1]
	v_pk_fma_f16 v111, 0x3846, v116, v111 op_sel_hi:[0,1,1] neg_lo:[0,1,0] neg_hi:[0,1,0]
	;; [unrolled: 1-line block ×3, first 2 shown]
	s_delay_alu instid0(VALU_DEP_4) | instskip(NEXT) | instid1(VALU_DEP_3)
	v_pk_fma_f16 v112, 0x3846, v116, v112 op_sel_hi:[0,1,1]
	v_pk_fma_f16 v111, 0xb70e, v113, v111 op_sel_hi:[0,1,1]
	s_delay_alu instid0(VALU_DEP_3) | instskip(SKIP_4) | instid1(VALU_DEP_3)
	v_pk_add_f16 v116, v117, v103
	v_pk_add_f16 v104, v104, v103 op_sel:[0,1] op_sel_hi:[1,0]
	v_pk_add_f16 v103, v110, v103
	v_pk_fma_f16 v110, 0xb70e, v113, v114 op_sel_hi:[0,1,1]
	v_pk_fma_f16 v112, 0xb70e, v113, v112 op_sel_hi:[0,1,1]
	v_pk_add_f16 v113, v103, v111 op_sel:[0,1] op_sel_hi:[1,0] neg_lo:[0,1] neg_hi:[0,1]
	s_delay_alu instid0(VALU_DEP_3) | instskip(SKIP_4) | instid1(VALU_DEP_4)
	v_pk_add_f16 v166, v104, v110
	v_pk_add_f16 v110, v104, v110 neg_lo:[0,1] neg_hi:[0,1]
	v_pk_add_f16 v103, v103, v111 op_sel:[0,1] op_sel_hi:[1,0]
	v_pk_add_f16 v111, v116, v112 op_sel:[0,1] op_sel_hi:[1,0]
	v_pk_add_f16 v104, v116, v112 op_sel:[0,1] op_sel_hi:[1,0] neg_lo:[0,1] neg_hi:[0,1]
	v_alignbit_b32 v114, v110, v166, 16
	s_delay_alu instid0(VALU_DEP_4) | instskip(SKIP_1) | instid1(VALU_DEP_4)
	v_bfi_b32 v116, 0xffff, v113, v103
	v_bfi_b32 v103, 0xffff, v103, v113
	;; [unrolled: 1-line block ×3, first 2 shown]
	v_lshrrev_b32_e32 v168, 16, v111
	ds_store_2addr_b32 v115, v114, v116 offset0:2 offset1:3
	ds_store_2addr_b32 v115, v109, v112 offset1:1
	v_alignbit_b32 v109, v166, v110, 16
	v_bfi_b32 v112, 0xffff, v104, v111
	ds_store_2addr_b32 v115, v103, v109 offset0:4 offset1:5
	ds_store_b32 v115, v112 offset:24
	v_lshrrev_b32_e32 v103, 16, v110
	global_wb scope:SCOPE_SE
	s_wait_dscnt 0x0
	s_barrier_signal -1
	s_barrier_wait -1
	global_inv scope:SCOPE_SE
	ds_load_2addr_b32 v[137:138], v119 offset0:94 offset1:149
	ds_load_2addr_b32 v[129:130], v108 offset0:76 offset1:141
	;; [unrolled: 1-line block ×9, first 2 shown]
	ds_load_2addr_b32 v[117:118], v131 offset1:55
	ds_load_b32 v255, v139 offset:7440
	ds_load_2addr_b32 v[109:110], v139 offset1:55
	ds_load_2addr_b32 v[107:108], v139 offset0:110 offset1:175
	ds_load_2addr_b32 v[135:136], v252 offset0:188 offset1:243
	;; [unrolled: 1-line block ×5, first 2 shown]
	s_and_saveexec_b32 s0, vcc_lo
	s_cbranch_execz .LBB0_7
; %bb.6:
	v_add_nc_u32_e32 v91, 0xd00, v139
	ds_load_2addr_b32 v[103:104], v253 offset0:37 offset1:212
	ds_load_2addr_b32 v[93:94], v252 offset0:3 offset1:178
	;; [unrolled: 1-line block ×5, first 2 shown]
	ds_load_b32 v230, v139 offset:7660
	s_wait_dscnt 0x5
	v_lshrrev_b32_e32 v166, 16, v103
	v_lshrrev_b32_e32 v168, 16, v104
	s_wait_dscnt 0x4
	v_lshrrev_b32_e32 v236, 16, v93
	v_lshrrev_b32_e32 v237, 16, v94
	;; [unrolled: 3-line block ×5, first 2 shown]
	s_wait_dscnt 0x0
	v_lshrrev_b32_e32 v234, 16, v230
.LBB0_7:
	s_wait_alu 0xfffe
	s_or_b32 exec_lo, exec_lo, s0
	s_wait_dscnt 0x4
	v_lshrrev_b32_e32 v142, 16, v108
	v_mul_f16_e64 v144, v173, v108
	v_mul_f16_e64 v148, v211, v137
	;; [unrolled: 1-line block ×3, first 2 shown]
	global_wb scope:SCOPE_SE
	s_wait_dscnt 0x0
	v_mul_f16_e64 v146, v173, v142
	v_fma_f16 v142, v64, v142, -v144
	v_lshrrev_b32_e32 v144, 16, v137
	s_barrier_signal -1
	s_barrier_wait -1
	v_fmac_f16_e64 v146, v64, v108
	v_lshrrev_b32_e32 v64, 16, v138
	v_mul_f16_e64 v151, v211, v144
	v_fma_f16 v144, v65, v144, -v148
	v_lshrrev_b32_e32 v148, 16, v130
	global_inv scope:SCOPE_SE
	v_mul_f16_e64 v108, v213, v64
	v_fmac_f16_e64 v151, v65, v137
	v_mul_f16_e64 v65, v213, v138
	v_mul_f16_e64 v251, v180, v148
	v_fma_f16 v252, v66, v148, -v153
	v_lshrrev_b32_e32 v148, 16, v135
	v_mul_f16_e64 v153, v181, v135
	v_fmac_f16_e64 v108, v53, v138
	v_fmac_f16_e64 v251, v66, v130
	v_lshrrev_b32_e32 v66, 16, v136
	v_mul_f16_e64 v180, v181, v148
	v_fma_f16 v211, v67, v148, -v153
	v_mul_f16_e64 v130, v210, v136
	v_fma_f16 v137, v53, v64, -v65
	v_lshrrev_b32_e32 v53, 16, v131
	v_fmac_f16_e64 v180, v67, v135
	v_mul_f16_e64 v67, v210, v66
	v_lshrrev_b32_e32 v135, 16, v133
	v_mul_f16_e64 v64, v215, v131
	v_fma_f16 v130, v55, v66, -v130
	s_delay_alu instid0(VALU_DEP_4) | instskip(SKIP_3) | instid1(VALU_DEP_3)
	v_fmac_f16_e64 v67, v55, v136
	v_mul_f16_e64 v136, v214, v133
	v_mul_f16_e64 v173, v214, v135
	v_lshrrev_b32_e32 v55, 16, v129
	v_fma_f16 v138, v52, v135, -v136
	v_mul_f16_e64 v135, v215, v53
	v_fma_f16 v136, v54, v53, -v64
	v_fmac_f16_e64 v173, v52, v133
	v_lshrrev_b32_e32 v52, 16, v134
	v_mul_f16_e64 v64, v249, v55
	v_fmac_f16_e64 v135, v54, v131
	v_mul_f16_e64 v53, v250, v134
	v_mul_f16_e64 v131, v249, v129
	;; [unrolled: 1-line block ×3, first 2 shown]
	v_fmac_f16_e64 v64, v61, v129
	v_lshrrev_b32_e32 v129, 16, v132
	v_mul_f16_e64 v133, v248, v132
	v_fma_f16 v66, v60, v52, -v53
	v_fmac_f16_e64 v65, v60, v134
	v_fma_f16 v60, v61, v55, -v131
	v_mul_f16_e64 v54, v248, v129
	v_lshrrev_b32_e32 v53, 16, v127
	v_mul_f16_e64 v61, v246, v127
	v_fma_f16 v55, v62, v129, -v133
	s_delay_alu instid0(VALU_DEP_4) | instskip(NEXT) | instid1(VALU_DEP_4)
	v_fmac_f16_e64 v54, v62, v132
	v_mul_f16_e64 v52, v246, v53
	s_delay_alu instid0(VALU_DEP_4) | instskip(SKIP_2) | instid1(VALU_DEP_4)
	v_fma_f16 v53, v63, v53, -v61
	v_lshrrev_b32_e32 v61, 16, v128
	v_lshrrev_b32_e32 v62, 16, v44
	v_fmac_f16_e32 v52, v63, v127
	v_lshrrev_b32_e32 v63, 16, v121
	s_delay_alu instid0(VALU_DEP_3) | instskip(SKIP_1) | instid1(VALU_DEP_2)
	v_mul_f16_e64 v210, v62, v61
	v_mul_f16_e64 v62, v62, v128
	v_fmac_f16_e64 v210, v44, v128
	s_delay_alu instid0(VALU_DEP_2) | instskip(SKIP_2) | instid1(VALU_DEP_2)
	v_fma_f16 v213, v44, v61, -v62
	v_lshrrev_b32_e32 v62, 16, v45
	v_lshrrev_b32_e32 v44, 16, v123
	v_mul_f16_e32 v61, v62, v123
	s_delay_alu instid0(VALU_DEP_2) | instskip(SKIP_1) | instid1(VALU_DEP_3)
	v_mul_f16_e64 v165, v62, v44
	v_lshrrev_b32_e32 v62, 16, v46
	v_fma_f16 v167, v45, v44, -v61
	v_lshrrev_b32_e32 v44, 16, v120
	s_delay_alu instid0(VALU_DEP_3) | instskip(SKIP_2) | instid1(VALU_DEP_4)
	v_mul_f16_e32 v61, v62, v120
	v_fmac_f16_e64 v165, v45, v123
	v_mul_f16_e64 v45, v205, v124
	v_mul_f16_e64 v148, v62, v44
	v_lshrrev_b32_e32 v62, 16, v47
	v_fma_f16 v134, v46, v44, -v61
	v_lshrrev_b32_e32 v44, 16, v125
	s_delay_alu instid0(VALU_DEP_4) | instskip(NEXT) | instid1(VALU_DEP_4)
	v_fmac_f16_e64 v148, v46, v120
	v_mul_f16_e32 v61, v62, v125
	v_lshrrev_b32_e32 v46, 16, v126
	s_delay_alu instid0(VALU_DEP_4)
	v_mul_f16_e32 v127, v62, v44
	v_mul_f16_e64 v120, v208, v121
	v_mul_f16_e64 v62, v208, v63
	v_fma_f16 v128, v47, v44, -v61
	v_lshrrev_b32_e32 v44, 16, v124
	v_fmac_f16_e32 v127, v47, v125
	v_mul_f16_e64 v47, v207, v126
	v_fma_f16 v63, v56, v63, -v120
	v_fmac_f16_e32 v62, v56, v121
	v_mul_f16_e64 v61, v205, v44
	v_fma_f16 v120, v57, v44, -v45
	v_lshrrev_b32_e32 v44, 16, v117
	v_mul_f16_e64 v45, v209, v117
	v_sub_f16_e64 v181, v211, v134
	v_fmac_f16_e32 v61, v57, v124
	v_mul_f16_e64 v124, v207, v46
	v_mul_f16_e64 v123, v209, v44
	v_fma_f16 v125, v58, v44, -v45
	v_lshrrev_b32_e32 v57, 16, v119
	v_add_f16_e64 v205, v213, v167
	v_fmac_f16_e32 v124, v59, v126
	v_fma_f16 v126, v59, v46, -v47
	v_lshrrev_b32_e32 v46, 16, v122
	v_lshrrev_b32_e32 v59, 16, v118
	v_fmac_f16_e32 v123, v58, v117
	v_mul_f16_e64 v47, v162, v122
	v_mul_f16_e64 v117, v160, v118
	;; [unrolled: 1-line block ×6, first 2 shown]
	v_fma_f16 v46, v48, v46, -v47
	v_fmac_f16_e32 v44, v48, v122
	v_fmac_f16_e32 v56, v50, v118
	v_fma_f16 v48, v50, v59, -v117
	v_lshrrev_b32_e32 v50, 16, v115
	v_fmac_f16_e32 v45, v49, v119
	v_fma_f16 v47, v49, v57, -v58
	v_mul_f16_e64 v57, v158, v115
	v_lshrrev_b32_e32 v58, 16, v111
	v_mul_f16_e64 v49, v158, v50
	v_mul_f16_e64 v59, v202, v111
	v_sub_f16_e64 v160, v252, v128
	v_fma_f16 v50, v51, v50, -v57
	v_mul_f16_e64 v57, v174, v116
	v_fmac_f16_e32 v49, v51, v115
	v_lshrrev_b32_e32 v51, 16, v116
	v_add_f16_e64 v158, v252, v128
	v_add_f16_e64 v162, v210, v165
	s_delay_alu instid0(VALU_DEP_3) | instskip(NEXT) | instid1(VALU_DEP_1)
	v_mul_f16_e64 v115, v174, v51
	v_fmac_f16_e32 v115, v101, v116
	v_fma_f16 v116, v101, v51, -v57
	v_lshrrev_b32_e32 v51, 16, v113
	v_mul_f16_e64 v57, v175, v113
	v_mul_f16_e64 v101, v202, v58
	v_sub_f16_e64 v202, v213, v167
	v_sub_f16_e64 v132, v144, v116
	v_mul_f16_e64 v117, v175, v51
	v_fma_f16 v121, v102, v51, -v57
	v_lshrrev_b32_e32 v51, 16, v114
	v_mul_f16_e64 v57, v201, v114
	v_fmac_f16_e32 v101, v105, v111
	v_fmac_f16_e32 v117, v102, v113
	v_fma_f16 v102, v105, v58, -v59
	v_mul_f16_e64 v113, v201, v51
	v_mul_f16_e64 v58, v241, v112
	v_lshrrev_b32_e32 v59, 16, v255
	v_sub_f16_e64 v119, v142, v121
	v_add_f16_e64 v131, v144, v116
	v_fmac_f16_e32 v113, v106, v114
	v_fma_f16 v106, v106, v51, -v57
	v_lshrrev_b32_e32 v57, 16, v112
	v_mul_f16_e32 v114, 0xb853, v119
	v_sub_f16_e64 v105, v146, v117
	v_add_f16_e64 v118, v142, v121
	v_add_f16_e64 v201, v211, v134
	v_mul_f16_e64 v51, v241, v57
	v_fma_f16 v57, v99, v57, -v58
	v_mul_f16_e64 v58, v154, v59
	v_mul_f16_e64 v159, 0x3482, v132
	;; [unrolled: 1-line block ×3, first 2 shown]
	v_fmac_f16_e32 v51, v99, v112
	v_mul_f16_e64 v99, v154, v255
	v_fmac_f16_e64 v58, v100, v255
	v_sub_f16_e64 v112, v151, v115
	v_mul_f16_e64 v154, 0xba0c, v181
	v_mul_f16_e64 v170, 0xbbad, v131
	v_fma_f16 v59, v100, v59, -v99
	v_add_f16_e64 v99, v109, v146
	v_mul_f16_e64 v249, 0xb08e, v131
	s_delay_alu instid0(VALU_DEP_4) | instskip(SKIP_1) | instid1(VALU_DEP_4)
	v_fma_f16 v172, 0xb482, v112, v170
	v_fmac_f16_e64 v170, 0x3482, v112
	v_add_f16_e64 v99, v99, v151
	s_delay_alu instid0(VALU_DEP_4) | instskip(SKIP_1) | instid1(VALU_DEP_3)
	v_fma_f16 v250, 0xbbeb, v112, v249
	v_fmac_f16_e64 v249, 0x3beb, v112
	v_add_f16_e64 v99, v99, v251
	s_delay_alu instid0(VALU_DEP_1) | instskip(NEXT) | instid1(VALU_DEP_1)
	v_add_f16_e64 v99, v99, v180
	v_add_f16_e64 v99, v99, v210
	s_delay_alu instid0(VALU_DEP_1) | instskip(SKIP_1) | instid1(VALU_DEP_2)
	v_add_f16_e64 v99, v99, v165
	v_sub_f16_e64 v165, v210, v165
	v_add_f16_e64 v99, v99, v148
	s_delay_alu instid0(VALU_DEP_1) | instskip(NEXT) | instid1(VALU_DEP_1)
	v_add_f16_e32 v99, v99, v127
	v_add_f16_e32 v100, v99, v115
	v_add_f16_e64 v99, v146, v117
	s_delay_alu instid0(VALU_DEP_2) | instskip(SKIP_1) | instid1(VALU_DEP_1)
	v_add_f16_e64 v129, v100, v117
	v_lshrrev_b32_e32 v100, 16, v109
	v_add_f16_e64 v111, v100, v142
	s_delay_alu instid0(VALU_DEP_1) | instskip(NEXT) | instid1(VALU_DEP_1)
	v_add_f16_e64 v111, v111, v144
	v_add_f16_e64 v111, v111, v252
	s_delay_alu instid0(VALU_DEP_1) | instskip(NEXT) | instid1(VALU_DEP_1)
	v_add_f16_e64 v111, v111, v211
	v_add_f16_e64 v111, v111, v213
	s_delay_alu instid0(VALU_DEP_1) | instskip(SKIP_1) | instid1(VALU_DEP_2)
	v_add_f16_e64 v111, v111, v167
	v_mul_f16_e64 v167, 0xb482, v202
	v_add_f16_e64 v111, v111, v134
	v_add_f16_e64 v134, v180, v148
	v_sub_f16_e64 v148, v180, v148
	v_mul_f16_e64 v180, 0xbbad, v205
	s_delay_alu instid0(VALU_DEP_4) | instskip(NEXT) | instid1(VALU_DEP_1)
	v_add_f16_e64 v111, v111, v128
	v_add_f16_e32 v111, v111, v116
	s_delay_alu instid0(VALU_DEP_1) | instskip(SKIP_3) | instid1(VALU_DEP_4)
	v_add_f16_e64 v133, v111, v121
	v_add_f16_e64 v111, v151, v115
	v_fmamk_f16 v115, v99, 0x3abb, v114
	v_mul_f16_e64 v151, 0xb93d, v131
	v_pack_b32_f16 v129, v129, v133
	s_delay_alu instid0(VALU_DEP_4) | instskip(NEXT) | instid1(VALU_DEP_4)
	v_fma_f16 v161, 0xbbad, v111, v159
	v_add_f16_e32 v116, v109, v115
	v_mul_f16_e64 v115, 0xbb47, v132
	v_fma_f16 v153, 0x3a0c, v112, v151
	v_fmac_f16_e64 v151, 0xba0c, v112
	s_delay_alu instid0(VALU_DEP_3) | instskip(NEXT) | instid1(VALU_DEP_1)
	v_fmamk_f16 v117, v111, 0x36a6, v115
	v_add_f16_e64 v142, v117, v116
	v_mul_f16_e32 v117, 0x3abb, v118
	s_delay_alu instid0(VALU_DEP_1) | instskip(SKIP_1) | instid1(VALU_DEP_2)
	v_fmamk_f16 v116, v105, 0x3853, v117
	v_fmac_f16_e32 v117, 0xb853, v105
	v_add_f16_e32 v121, v100, v116
	v_mul_f16_e64 v116, 0x36a6, v131
	v_mul_f16_e64 v131, 0x3abb, v131
	s_delay_alu instid0(VALU_DEP_2) | instskip(NEXT) | instid1(VALU_DEP_2)
	v_fmamk_f16 v122, v112, 0x3b47, v116
	v_fma_f16 v252, 0xb853, v112, v131
	v_fmac_f16_e64 v131, 0x3853, v112
	v_fmac_f16_e32 v116, 0xbb47, v112
	s_delay_alu instid0(VALU_DEP_4) | instskip(SKIP_3) | instid1(VALU_DEP_1)
	v_add_f16_e64 v144, v122, v121
	v_add_f16_e64 v121, v251, v127
	v_sub_f16_e64 v122, v251, v127
	v_mul_f16_e64 v127, 0xbbeb, v160
	v_fma_f16 v128, 0xb08e, v121, v127
	s_delay_alu instid0(VALU_DEP_1) | instskip(SKIP_1) | instid1(VALU_DEP_1)
	v_add_f16_e64 v142, v128, v142
	v_mul_f16_e64 v128, 0xb08e, v158
	v_fma_f16 v146, 0x3beb, v122, v128
	v_fmac_f16_e64 v128, 0xbbeb, v122
	s_delay_alu instid0(VALU_DEP_2) | instskip(SKIP_1) | instid1(VALU_DEP_1)
	v_add_f16_e64 v144, v146, v144
	v_fma_f16 v146, 0xb93d, v134, v154
	v_add_f16_e64 v142, v146, v142
	v_fma_f16 v146, 0x3a0c, v148, v157
	v_fmac_f16_e64 v157, 0xba0c, v148
	s_delay_alu instid0(VALU_DEP_2) | instskip(SKIP_1) | instid1(VALU_DEP_1)
	v_add_f16_e64 v144, v146, v144
	v_fma_f16 v146, 0xbbad, v162, v167
	v_add_f16_e64 v207, v146, v142
	v_fma_f16 v142, 0x3482, v165, v180
	v_fmac_f16_e64 v180, 0xb482, v165
	s_delay_alu instid0(VALU_DEP_2) | instskip(SKIP_1) | instid1(VALU_DEP_2)
	v_add_f16_e64 v208, v142, v144
	v_mul_f16_e64 v142, 0xba0c, v132
	v_pack_b32_f16 v133, v207, v208
	s_delay_alu instid0(VALU_DEP_2) | instskip(SKIP_2) | instid1(VALU_DEP_1)
	v_fma_f16 v144, 0xb93d, v111, v142
	ds_store_2addr_b32 v224, v129, v133 offset1:7
	v_mul_f16_e64 v129, 0xbb47, v119
	v_fma_f16 v133, 0x36a6, v99, v129
	s_delay_alu instid0(VALU_DEP_1) | instskip(NEXT) | instid1(VALU_DEP_1)
	v_add_f16_e64 v133, v109, v133
	v_add_f16_e64 v133, v144, v133
	v_mul_f16_e64 v144, 0x36a6, v118
	s_delay_alu instid0(VALU_DEP_1) | instskip(SKIP_1) | instid1(VALU_DEP_2)
	v_fma_f16 v146, 0x3b47, v105, v144
	v_fmac_f16_e64 v144, 0xbb47, v105
	v_add_f16_e64 v146, v100, v146
	s_delay_alu instid0(VALU_DEP_1) | instskip(SKIP_1) | instid1(VALU_DEP_1)
	v_add_f16_e64 v146, v153, v146
	v_mul_f16_e64 v153, 0xbbeb, v119
	v_fma_f16 v155, 0xb08e, v99, v153
	s_delay_alu instid0(VALU_DEP_1) | instskip(NEXT) | instid1(VALU_DEP_1)
	v_add_f16_e64 v155, v109, v155
	v_add_f16_e64 v155, v161, v155
	v_mul_f16_e64 v161, 0xb08e, v118
	s_delay_alu instid0(VALU_DEP_1) | instskip(SKIP_1) | instid1(VALU_DEP_2)
	v_fma_f16 v163, 0x3beb, v105, v161
	v_fmac_f16_e64 v161, 0xbbeb, v105
	v_add_f16_e64 v163, v100, v163
	s_delay_alu instid0(VALU_DEP_1) | instskip(SKIP_1) | instid1(VALU_DEP_1)
	v_add_f16_e64 v163, v172, v163
	v_mul_f16_e64 v172, 0x3482, v160
	v_fma_f16 v207, 0xbbad, v121, v172
	s_delay_alu instid0(VALU_DEP_1) | instskip(SKIP_1) | instid1(VALU_DEP_1)
	v_add_f16_e64 v133, v207, v133
	v_mul_f16_e64 v207, 0xbbad, v158
	v_fma_f16 v208, 0xb482, v122, v207
	v_fmac_f16_e64 v207, 0x3482, v122
	s_delay_alu instid0(VALU_DEP_2) | instskip(SKIP_1) | instid1(VALU_DEP_1)
	v_add_f16_e64 v146, v208, v146
	v_mul_f16_e64 v208, 0x3b47, v160
	v_fma_f16 v209, 0x36a6, v121, v208
	s_delay_alu instid0(VALU_DEP_1) | instskip(SKIP_1) | instid1(VALU_DEP_1)
	v_add_f16_e64 v155, v209, v155
	v_mul_f16_e64 v209, 0x36a6, v158
	v_fma_f16 v210, 0xbb47, v122, v209
	v_fmac_f16_e64 v209, 0x3b47, v122
	s_delay_alu instid0(VALU_DEP_2) | instskip(SKIP_1) | instid1(VALU_DEP_1)
	;; [unrolled: 9-line block ×4, first 2 shown]
	v_add_f16_e64 v163, v215, v163
	v_mul_f16_e64 v215, 0x3853, v202
	v_fma_f16 v241, 0x3abb, v162, v215
	s_delay_alu instid0(VALU_DEP_1) | instskip(SKIP_1) | instid1(VALU_DEP_1)
	v_add_f16_e64 v133, v241, v133
	v_mul_f16_e64 v241, 0x3abb, v205
	v_fma_f16 v243, 0xb853, v165, v241
	v_fmac_f16_e64 v241, 0x3853, v165
	s_delay_alu instid0(VALU_DEP_2) | instskip(SKIP_1) | instid1(VALU_DEP_2)
	v_add_f16_e64 v146, v243, v146
	v_mul_f16_e64 v243, 0xba0c, v202
	v_pack_b32_f16 v133, v133, v146
	s_delay_alu instid0(VALU_DEP_2) | instskip(NEXT) | instid1(VALU_DEP_1)
	v_fma_f16 v246, 0xb93d, v162, v243
	v_add_f16_e64 v155, v246, v155
	v_mul_f16_e64 v246, 0xb93d, v205
	s_delay_alu instid0(VALU_DEP_1) | instskip(SKIP_1) | instid1(VALU_DEP_2)
	v_fma_f16 v248, 0x3a0c, v165, v246
	v_fmac_f16_e64 v246, 0xba0c, v165
	v_add_f16_e64 v163, v248, v163
	s_delay_alu instid0(VALU_DEP_1)
	v_pack_b32_f16 v146, v155, v163
	v_mul_f16_e64 v155, 0x3beb, v132
	v_mul_f16_e64 v132, 0x3853, v132
	ds_store_2addr_b32 v224, v133, v146 offset0:14 offset1:21
	v_mul_f16_e64 v133, 0xba0c, v119
	v_fma_f16 v163, 0xb08e, v111, v155
	v_mul_f16_e32 v119, 0xb482, v119
	v_fma_f16 v251, 0x3abb, v111, v132
	v_fma_f16 v132, v111, 0x3abb, -v132
	v_fma_f16 v146, 0xb93d, v99, v133
	v_fma_f16 v133, v99, 0xb93d, -v133
	s_delay_alu instid0(VALU_DEP_2) | instskip(NEXT) | instid1(VALU_DEP_2)
	v_add_f16_e64 v146, v109, v146
	v_add_f16_e64 v133, v109, v133
	s_delay_alu instid0(VALU_DEP_2) | instskip(SKIP_2) | instid1(VALU_DEP_2)
	v_add_f16_e64 v146, v163, v146
	v_mul_f16_e64 v163, 0xb93d, v118
	v_mul_f16_e32 v118, 0xbbad, v118
	v_fma_f16 v248, 0x3a0c, v105, v163
	v_fmac_f16_e64 v163, 0xba0c, v105
	s_delay_alu instid0(VALU_DEP_2) | instskip(NEXT) | instid1(VALU_DEP_1)
	v_add_f16_e64 v248, v100, v248
	v_add_f16_e64 v248, v250, v248
	v_fma_f16 v250, 0xbbad, v99, v119
	v_fma_f16 v119, v99, 0xbbad, -v119
	s_delay_alu instid0(VALU_DEP_2) | instskip(NEXT) | instid1(VALU_DEP_2)
	v_add_f16_e64 v250, v109, v250
	v_add_f16_e32 v119, v109, v119
	s_delay_alu instid0(VALU_DEP_2) | instskip(SKIP_2) | instid1(VALU_DEP_4)
	v_add_f16_e64 v250, v251, v250
	v_fma_f16 v251, 0x3482, v105, v118
	v_fmac_f16_e32 v118, 0xb482, v105
	v_add_f16_e64 v119, v132, v119
	v_fma_f16 v105, v111, 0x36a6, -v115
	s_delay_alu instid0(VALU_DEP_4) | instskip(NEXT) | instid1(VALU_DEP_4)
	v_add_f16_e64 v251, v100, v251
	v_add_f16_e32 v118, v100, v118
	s_delay_alu instid0(VALU_DEP_2) | instskip(SKIP_2) | instid1(VALU_DEP_4)
	v_add_f16_e64 v251, v252, v251
	v_mul_f16_e64 v252, 0xb853, v160
	v_mul_f16_e64 v160, 0xba0c, v160
	v_add_f16_e64 v118, v131, v118
	s_delay_alu instid0(VALU_DEP_3) | instskip(SKIP_1) | instid1(VALU_DEP_2)
	v_fma_f16 v253, 0x3abb, v121, v252
	v_fma_f16 v131, v121, 0x3abb, -v252
	v_add_f16_e64 v146, v253, v146
	v_mul_f16_e64 v253, 0x3abb, v158
	v_mul_f16_e64 v158, 0xb93d, v158
	s_delay_alu instid0(VALU_DEP_2) | instskip(SKIP_1) | instid1(VALU_DEP_2)
	v_fma_f16 v254, 0x3853, v122, v253
	v_fmac_f16_e64 v253, 0xb853, v122
	v_add_f16_e64 v248, v254, v248
	v_fma_f16 v254, 0xb93d, v121, v160
	s_delay_alu instid0(VALU_DEP_1) | instskip(SKIP_3) | instid1(VALU_DEP_3)
	v_add_f16_e64 v250, v254, v250
	v_fma_f16 v254, 0x3a0c, v122, v158
	v_fmac_f16_e64 v158, 0xba0c, v122
	v_add_f16_e32 v122, v108, v101
	v_add_f16_e64 v251, v254, v251
	v_mul_f16_e64 v254, 0xb482, v181
	v_mul_f16_e64 v181, 0x3b47, v181
	v_add_f16_e64 v118, v158, v118
	s_delay_alu instid0(VALU_DEP_3) | instskip(NEXT) | instid1(VALU_DEP_1)
	v_fma_f16 v255, 0xbbad, v134, v254
	v_add_f16_e64 v146, v255, v146
	v_mul_f16_e64 v255, 0xbbad, v201
	v_mul_f16_e64 v201, 0x36a6, v201
	s_delay_alu instid0(VALU_DEP_2) | instskip(SKIP_1) | instid1(VALU_DEP_2)
	v_fma_f16 v169, 0x3482, v148, v255
	v_fmac_f16_e64 v255, 0xb482, v148
	v_add_f16_e64 v169, v169, v248
	v_fma_f16 v248, 0x36a6, v134, v181
	s_delay_alu instid0(VALU_DEP_1) | instskip(SKIP_2) | instid1(VALU_DEP_2)
	v_add_f16_e64 v248, v248, v250
	v_fma_f16 v250, 0xbb47, v148, v201
	v_fmac_f16_e64 v201, 0x3b47, v148
	v_add_f16_e64 v250, v250, v251
	v_mul_f16_e64 v251, 0x3b47, v202
	s_delay_alu instid0(VALU_DEP_3) | instskip(NEXT) | instid1(VALU_DEP_2)
	v_add_f16_e64 v118, v201, v118
	v_fma_f16 v174, 0x36a6, v162, v251
	s_delay_alu instid0(VALU_DEP_1) | instskip(SKIP_2) | instid1(VALU_DEP_2)
	v_add_f16_e64 v146, v174, v146
	v_mul_f16_e64 v174, 0x36a6, v205
	v_mul_f16_e64 v205, 0xb08e, v205
	v_fma_f16 v175, 0xbb47, v165, v174
	v_fmac_f16_e64 v174, 0x3b47, v165
	s_delay_alu instid0(VALU_DEP_2) | instskip(SKIP_1) | instid1(VALU_DEP_2)
	v_add_f16_e64 v169, v175, v169
	v_mul_f16_e64 v175, 0xbbeb, v202
	v_pack_b32_f16 v146, v146, v169
	s_delay_alu instid0(VALU_DEP_2) | instskip(NEXT) | instid1(VALU_DEP_1)
	v_fma_f16 v202, 0xb08e, v162, v175
	v_add_f16_e64 v202, v202, v248
	v_fma_f16 v248, 0x3beb, v165, v205
	v_fmac_f16_e64 v205, 0xbbeb, v165
	s_delay_alu instid0(VALU_DEP_2) | instskip(NEXT) | instid1(VALU_DEP_2)
	v_add_f16_e64 v248, v248, v250
	v_add_f16_e64 v118, v205, v118
	s_delay_alu instid0(VALU_DEP_2) | instskip(SKIP_2) | instid1(VALU_DEP_1)
	v_pack_b32_f16 v169, v202, v248
	ds_store_2addr_b32 v224, v146, v169 offset0:28 offset1:35
	v_fma_f16 v146, v111, 0xb08e, -v155
	v_add_f16_e64 v133, v146, v133
	v_add_f16_e64 v146, v100, v163
	s_delay_alu instid0(VALU_DEP_2) | instskip(SKIP_1) | instid1(VALU_DEP_3)
	v_add_f16_e64 v131, v131, v133
	v_fma_f16 v133, v121, 0xb93d, -v160
	v_add_f16_e64 v146, v249, v146
	s_delay_alu instid0(VALU_DEP_2) | instskip(SKIP_1) | instid1(VALU_DEP_3)
	v_add_f16_e64 v119, v133, v119
	v_fma_f16 v133, v134, 0xbbad, -v254
	v_add_f16_e64 v132, v253, v146
	s_delay_alu instid0(VALU_DEP_2) | instskip(SKIP_1) | instid1(VALU_DEP_3)
	v_add_f16_e64 v131, v133, v131
	v_fma_f16 v133, v134, 0x36a6, -v181
	v_add_f16_e64 v132, v255, v132
	s_delay_alu instid0(VALU_DEP_2) | instskip(SKIP_1) | instid1(VALU_DEP_3)
	v_add_f16_e64 v119, v133, v119
	v_fma_f16 v133, v162, 0x36a6, -v251
	v_add_f16_e64 v132, v174, v132
	s_delay_alu instid0(VALU_DEP_2) | instskip(SKIP_1) | instid1(VALU_DEP_1)
	v_add_f16_e64 v131, v133, v131
	v_fma_f16 v133, v162, 0xb08e, -v175
	v_add_f16_e64 v119, v133, v119
	s_delay_alu instid0(VALU_DEP_1) | instskip(NEXT) | instid1(VALU_DEP_4)
	v_pack_b32_f16 v118, v119, v118
	v_pack_b32_f16 v119, v131, v132
	v_fma_f16 v131, v111, 0xbbad, -v159
	v_fma_f16 v132, v121, 0xbbad, -v172
	ds_store_2addr_b32 v224, v118, v119 offset0:42 offset1:49
	v_fma_f16 v118, v99, 0x36a6, -v129
	v_fma_f16 v129, v99, 0xb08e, -v153
	;; [unrolled: 1-line block ×4, first 2 shown]
	s_delay_alu instid0(VALU_DEP_4) | instskip(NEXT) | instid1(VALU_DEP_4)
	v_add_f16_e32 v118, v109, v118
	v_add_f16_e64 v129, v109, v129
	s_delay_alu instid0(VALU_DEP_3) | instskip(NEXT) | instid1(VALU_DEP_3)
	v_add_f16_e32 v99, v109, v99
	v_add_f16_e32 v118, v119, v118
	v_add_f16_e64 v119, v100, v144
	s_delay_alu instid0(VALU_DEP_4)
	v_add_f16_e64 v129, v131, v129
	v_add_f16_e64 v131, v100, v161
	v_add_f16_e32 v100, v100, v117
	v_add_f16_e64 v118, v132, v118
	v_fma_f16 v132, v121, 0x36a6, -v208
	v_add_f16_e32 v99, v105, v99
	v_fma_f16 v105, v121, 0xb08e, -v127
	v_add_f16_e32 v100, v116, v100
	v_add_f16_e64 v119, v151, v119
	v_add_f16_e64 v129, v132, v129
	v_fma_f16 v132, v134, 0xb08e, -v210
	v_add_f16_e32 v99, v105, v99
	v_add_f16_e64 v100, v128, v100
	v_fma_f16 v105, v134, 0xb93d, -v154
	v_add_f16_e64 v131, v170, v131
	v_add_f16_e64 v118, v132, v118
	v_fma_f16 v132, v134, 0x3abb, -v213
	v_add_f16_e64 v100, v157, v100
	v_add_f16_e32 v99, v105, v99
	v_fma_f16 v105, v162, 0xbbad, -v167
	v_add_f16_e64 v119, v207, v119
	v_add_f16_e64 v131, v209, v131
	;; [unrolled: 1-line block ×3, first 2 shown]
	v_fma_f16 v132, v162, 0x3abb, -v215
	v_add_f16_e32 v99, v105, v99
	v_add_f16_e64 v100, v180, v100
	v_add_f16_e64 v119, v211, v119
	v_add_f16_e64 v131, v214, v131
	v_add_f16_e64 v118, v132, v118
	v_fma_f16 v132, v162, 0xb93d, -v243
	v_pack_b32_f16 v99, v99, v100
	v_add_f16_e64 v119, v241, v119
	v_add_f16_e64 v131, v246, v131
	;; [unrolled: 1-line block ×4, first 2 shown]
	ds_store_b32 v224, v99 offset:280
	v_sub_f16_e64 v99, v138, v106
	v_pack_b32_f16 v118, v118, v119
	v_sub_f16_e64 v119, v173, v113
	v_pack_b32_f16 v129, v129, v131
	v_add_f16_e64 v121, v138, v106
	v_mul_f16_e32 v105, 0xb853, v99
	v_mul_f16_e32 v111, 0xbb47, v99
	;; [unrolled: 1-line block ×5, first 2 shown]
	ds_store_2addr_b32 v224, v129, v118 offset0:56 offset1:63
	v_fmamk_f16 v109, v100, 0x3abb, v105
	v_fmamk_f16 v112, v100, 0x36a6, v111
	;; [unrolled: 1-line block ×5, first 2 shown]
	v_fma_f16 v105, v100, 0x3abb, -v105
	v_fma_f16 v111, v100, 0x36a6, -v111
	v_fma_f16 v114, v100, 0xb08e, -v114
	v_fma_f16 v115, v100, 0xb93d, -v115
	v_fma_f16 v99, v100, 0xbbad, -v99
	v_add_f16_e32 v100, v110, v109
	v_add_f16_e32 v109, v110, v112
	;; [unrolled: 1-line block ×5, first 2 shown]
	v_add_f16_e64 v118, v110, v173
	v_add_f16_e32 v105, v110, v105
	v_add_f16_e32 v111, v110, v111
	;; [unrolled: 1-line block ×6, first 2 shown]
	v_lshrrev_b32_e32 v110, 16, v110
	v_add_f16_e64 v132, v135, v124
	s_delay_alu instid0(VALU_DEP_4) | instskip(NEXT) | instid1(VALU_DEP_1)
	v_add_f16_e64 v118, v118, v135
	v_add_f16_e32 v118, v118, v67
	s_delay_alu instid0(VALU_DEP_1) | instskip(NEXT) | instid1(VALU_DEP_1)
	v_add_f16_e32 v118, v118, v62
	v_add_f16_e32 v118, v118, v61
	s_delay_alu instid0(VALU_DEP_1) | instskip(NEXT) | instid1(VALU_DEP_1)
	v_add_f16_e32 v118, v118, v123
	v_add_f16_e32 v118, v118, v124
	v_sub_f16_e64 v124, v135, v124
	s_delay_alu instid0(VALU_DEP_2) | instskip(SKIP_1) | instid1(VALU_DEP_2)
	v_add_f16_e32 v118, v118, v101
	v_sub_f16_e32 v101, v108, v101
	v_add_f16_e32 v113, v118, v113
	v_add_f16_e64 v118, v110, v138
	s_delay_alu instid0(VALU_DEP_1) | instskip(NEXT) | instid1(VALU_DEP_1)
	v_add_f16_e64 v118, v118, v137
	v_add_f16_e64 v118, v118, v136
	s_delay_alu instid0(VALU_DEP_1) | instskip(NEXT) | instid1(VALU_DEP_1)
	v_add_f16_e64 v118, v118, v130
	v_add_f16_e32 v118, v118, v63
	s_delay_alu instid0(VALU_DEP_1) | instskip(NEXT) | instid1(VALU_DEP_1)
	v_add_f16_e32 v118, v118, v120
	v_add_f16_e32 v118, v118, v125
	s_delay_alu instid0(VALU_DEP_1) | instskip(NEXT) | instid1(VALU_DEP_1)
	v_add_f16_e32 v118, v118, v126
	v_add_f16_e32 v118, v118, v102
	s_delay_alu instid0(VALU_DEP_1) | instskip(SKIP_2) | instid1(VALU_DEP_3)
	v_add_f16_e32 v106, v118, v106
	v_sub_f16_e64 v118, v137, v102
	v_add_f16_e64 v102, v137, v102
	v_pack_b32_f16 v106, v113, v106
	s_delay_alu instid0(VALU_DEP_3) | instskip(NEXT) | instid1(VALU_DEP_3)
	v_mul_f16_e32 v108, 0xbb47, v118
	v_mul_f16_e64 v129, 0x36a6, v102
	v_mul_f16_e64 v148, 0xbbad, v102
	s_delay_alu instid0(VALU_DEP_3) | instskip(NEXT) | instid1(VALU_DEP_3)
	v_fmamk_f16 v127, v122, 0x36a6, v108
	v_fma_f16 v131, 0x3b47, v101, v129
	s_delay_alu instid0(VALU_DEP_3)
	v_fma_f16 v151, 0xb482, v101, v148
	v_fma_f16 v108, v122, 0x36a6, -v108
	v_fmac_f16_e64 v129, 0xbb47, v101
	v_add_f16_e32 v100, v127, v100
	v_mul_f16_e32 v127, 0x3abb, v121
	v_fmac_f16_e64 v148, 0x3482, v101
	v_add_f16_e32 v105, v108, v105
	s_delay_alu instid0(VALU_DEP_3) | instskip(SKIP_1) | instid1(VALU_DEP_2)
	v_fma_f16 v128, 0x3853, v119, v127
	v_fmac_f16_e32 v127, 0xb853, v119
	v_add_f16_e64 v128, v110, v128
	s_delay_alu instid0(VALU_DEP_1) | instskip(SKIP_2) | instid1(VALU_DEP_2)
	v_add_f16_e64 v128, v131, v128
	v_sub_f16_e64 v131, v136, v126
	v_add_f16_e64 v126, v136, v126
	v_mul_f16_e64 v133, 0xbbeb, v131
	s_delay_alu instid0(VALU_DEP_1) | instskip(NEXT) | instid1(VALU_DEP_1)
	v_fma_f16 v134, 0xb08e, v132, v133
	v_add_f16_e64 v100, v134, v100
	s_delay_alu instid0(VALU_DEP_4) | instskip(NEXT) | instid1(VALU_DEP_1)
	v_mul_f16_e64 v134, 0xb08e, v126
	v_fma_f16 v135, 0x3beb, v124, v134
	v_fmac_f16_e64 v134, 0xbbeb, v124
	s_delay_alu instid0(VALU_DEP_2) | instskip(SKIP_4) | instid1(VALU_DEP_4)
	v_add_f16_e64 v128, v135, v128
	v_sub_f16_e64 v135, v130, v125
	v_add_f16_e64 v125, v130, v125
	v_add_f16_e64 v130, v67, v123
	v_sub_f16_e32 v67, v67, v123
	v_mul_f16_e64 v123, 0xba0c, v135
	s_delay_alu instid0(VALU_DEP_1) | instskip(NEXT) | instid1(VALU_DEP_1)
	v_fma_f16 v136, 0xb93d, v130, v123
	v_add_f16_e64 v100, v136, v100
	v_mul_f16_e64 v136, 0xb93d, v125
	s_delay_alu instid0(VALU_DEP_1) | instskip(SKIP_1) | instid1(VALU_DEP_2)
	v_fma_f16 v137, 0x3a0c, v67, v136
	v_fmac_f16_e64 v136, 0xba0c, v67
	v_add_f16_e64 v128, v137, v128
	v_sub_f16_e64 v137, v63, v120
	v_add_f16_e32 v63, v63, v120
	v_add_f16_e32 v120, v62, v61
	v_sub_f16_e32 v61, v62, v61
	s_delay_alu instid0(VALU_DEP_4) | instskip(NEXT) | instid1(VALU_DEP_1)
	v_mul_f16_e64 v62, 0xb482, v137
	v_fma_f16 v138, 0xbbad, v120, v62
	v_fma_f16 v62, v120, 0xbbad, -v62
	s_delay_alu instid0(VALU_DEP_2) | instskip(SKIP_1) | instid1(VALU_DEP_1)
	v_add_f16_e64 v100, v138, v100
	v_mul_f16_e64 v138, 0xbbad, v63
	v_fma_f16 v142, 0x3482, v61, v138
	v_fmac_f16_e64 v138, 0xb482, v61
	s_delay_alu instid0(VALU_DEP_2) | instskip(NEXT) | instid1(VALU_DEP_1)
	v_add_f16_e64 v128, v142, v128
	v_pack_b32_f16 v100, v100, v128
	v_mul_f16_e64 v128, 0xb93d, v102
	ds_store_2addr_b32 v223, v106, v100 offset1:7
	v_mul_f16_e32 v100, 0xba0c, v118
	v_fma_f16 v142, 0x3a0c, v101, v128
	v_fmac_f16_e64 v128, 0xba0c, v101
	s_delay_alu instid0(VALU_DEP_3) | instskip(SKIP_1) | instid1(VALU_DEP_2)
	v_fmamk_f16 v106, v122, 0xb93d, v100
	v_fma_f16 v100, v122, 0xb93d, -v100
	v_add_f16_e32 v106, v106, v109
	v_mul_f16_e32 v109, 0x36a6, v121
	s_delay_alu instid0(VALU_DEP_3) | instskip(NEXT) | instid1(VALU_DEP_2)
	v_add_f16_e32 v100, v100, v111
	v_fmamk_f16 v113, v119, 0x3b47, v109
	v_fmac_f16_e32 v109, 0xbb47, v119
	s_delay_alu instid0(VALU_DEP_2) | instskip(NEXT) | instid1(VALU_DEP_2)
	v_add_f16_e32 v113, v110, v113
	v_add_f16_e32 v109, v110, v109
	s_delay_alu instid0(VALU_DEP_2) | instskip(SKIP_1) | instid1(VALU_DEP_3)
	v_add_f16_e64 v113, v142, v113
	v_mul_f16_e64 v142, 0x3482, v118
	v_add_f16_e64 v109, v128, v109
	s_delay_alu instid0(VALU_DEP_2) | instskip(SKIP_1) | instid1(VALU_DEP_2)
	v_fma_f16 v144, 0xbbad, v122, v142
	v_fma_f16 v111, v122, 0xbbad, -v142
	v_add_f16_e64 v112, v144, v112
	v_mul_f16_e64 v144, 0xb08e, v121
	s_delay_alu instid0(VALU_DEP_3) | instskip(SKIP_1) | instid1(VALU_DEP_3)
	v_add_f16_e32 v111, v111, v114
	v_mul_f16_e32 v114, 0x3beb, v118
	v_fma_f16 v146, 0x3beb, v119, v144
	v_fmac_f16_e64 v144, 0xbbeb, v119
	s_delay_alu instid0(VALU_DEP_2) | instskip(NEXT) | instid1(VALU_DEP_1)
	v_add_f16_e64 v146, v110, v146
	v_add_f16_e64 v146, v151, v146
	v_mul_f16_e64 v151, 0x3482, v131
	s_delay_alu instid0(VALU_DEP_1) | instskip(NEXT) | instid1(VALU_DEP_1)
	v_fma_f16 v153, 0xbbad, v132, v151
	v_add_f16_e64 v106, v153, v106
	v_mul_f16_e64 v153, 0xbbad, v126
	s_delay_alu instid0(VALU_DEP_1) | instskip(SKIP_1) | instid1(VALU_DEP_2)
	v_fma_f16 v154, 0xb482, v124, v153
	v_fmac_f16_e64 v153, 0x3482, v124
	v_add_f16_e64 v113, v154, v113
	v_mul_f16_e64 v154, 0x3b47, v131
	s_delay_alu instid0(VALU_DEP_3) | instskip(NEXT) | instid1(VALU_DEP_2)
	v_add_f16_e64 v109, v153, v109
	v_fma_f16 v155, 0x36a6, v132, v154
	s_delay_alu instid0(VALU_DEP_1) | instskip(SKIP_1) | instid1(VALU_DEP_1)
	v_add_f16_e64 v112, v155, v112
	v_mul_f16_e64 v155, 0x36a6, v126
	v_fma_f16 v157, 0xbb47, v124, v155
	v_fmac_f16_e64 v155, 0x3b47, v124
	s_delay_alu instid0(VALU_DEP_2) | instskip(SKIP_1) | instid1(VALU_DEP_1)
	v_add_f16_e64 v146, v157, v146
	v_mul_f16_e64 v157, 0x3beb, v135
	v_fma_f16 v158, 0xb08e, v130, v157
	s_delay_alu instid0(VALU_DEP_1) | instskip(SKIP_1) | instid1(VALU_DEP_1)
	v_add_f16_e64 v106, v158, v106
	v_mul_f16_e64 v158, 0xb08e, v125
	v_fma_f16 v159, 0xbbeb, v67, v158
	v_fmac_f16_e64 v158, 0x3beb, v67
	s_delay_alu instid0(VALU_DEP_2) | instskip(SKIP_1) | instid1(VALU_DEP_3)
	v_add_f16_e64 v113, v159, v113
	v_mul_f16_e64 v159, 0xb853, v135
	v_add_f16_e64 v109, v158, v109
	s_delay_alu instid0(VALU_DEP_2) | instskip(NEXT) | instid1(VALU_DEP_1)
	v_fma_f16 v160, 0x3abb, v130, v159
	v_add_f16_e64 v112, v160, v112
	v_mul_f16_e64 v160, 0x3abb, v125
	s_delay_alu instid0(VALU_DEP_1) | instskip(SKIP_1) | instid1(VALU_DEP_2)
	v_fma_f16 v161, 0x3853, v67, v160
	v_fmac_f16_e64 v160, 0xb853, v67
	v_add_f16_e64 v146, v161, v146
	v_mul_f16_e64 v161, 0x3853, v137
	s_delay_alu instid0(VALU_DEP_1) | instskip(NEXT) | instid1(VALU_DEP_1)
	v_fma_f16 v162, 0x3abb, v120, v161
	v_add_f16_e64 v106, v162, v106
	v_mul_f16_e64 v162, 0x3abb, v63
	s_delay_alu instid0(VALU_DEP_1) | instskip(SKIP_1) | instid1(VALU_DEP_2)
	v_fma_f16 v163, 0xb853, v61, v162
	v_fmac_f16_e64 v162, 0x3853, v61
	v_add_f16_e64 v113, v163, v113
	v_mul_f16_e64 v163, 0xba0c, v137
	s_delay_alu instid0(VALU_DEP_2) | instskip(NEXT) | instid1(VALU_DEP_2)
	v_pack_b32_f16 v106, v106, v113
	v_fma_f16 v165, 0xb93d, v120, v163
	s_delay_alu instid0(VALU_DEP_1) | instskip(SKIP_1) | instid1(VALU_DEP_1)
	v_add_f16_e64 v112, v165, v112
	v_mul_f16_e64 v165, 0xb93d, v63
	v_fma_f16 v167, 0x3a0c, v61, v165
	v_fmac_f16_e64 v165, 0xba0c, v61
	s_delay_alu instid0(VALU_DEP_2) | instskip(NEXT) | instid1(VALU_DEP_1)
	v_add_f16_e64 v146, v167, v146
	v_pack_b32_f16 v112, v112, v146
	ds_store_2addr_b32 v223, v106, v112 offset0:14 offset1:21
	v_mul_f16_e32 v106, 0xb93d, v121
	v_mul_f16_e32 v112, 0xbbad, v121
	s_delay_alu instid0(VALU_DEP_2) | instskip(SKIP_1) | instid1(VALU_DEP_3)
	v_fmamk_f16 v113, v119, 0x3a0c, v106
	v_fmac_f16_e32 v106, 0xba0c, v119
	v_fmamk_f16 v121, v119, 0x3482, v112
	v_fmac_f16_e32 v112, 0xb482, v119
	v_add_f16_e32 v119, v110, v127
	v_add_f16_e64 v127, v110, v144
	v_add_f16_e32 v113, v110, v113
	v_add_f16_e32 v106, v110, v106
	;; [unrolled: 1-line block ×3, first 2 shown]
	v_add_f16_e64 v108, v129, v119
	v_fmamk_f16 v119, v122, 0xb08e, v114
	v_fma_f16 v114, v122, 0xb08e, -v114
	v_add_f16_e32 v110, v110, v112
	v_add_f16_e64 v112, v148, v127
	v_add_f16_e64 v108, v134, v108
	v_add_f16_e32 v116, v119, v116
	v_mul_f16_e32 v119, 0xb08e, v102
	v_add_f16_e32 v114, v114, v115
	v_mul_f16_e32 v115, 0x3853, v118
	v_mul_f16_e32 v102, 0x3abb, v102
	v_add_f16_e64 v108, v136, v108
	v_fmamk_f16 v127, v101, 0xbbeb, v119
	v_fmac_f16_e32 v119, 0x3beb, v101
	v_fmamk_f16 v118, v122, 0x3abb, v115
	v_fma_f16 v115, v122, 0x3abb, -v115
	v_fmamk_f16 v122, v101, 0xb853, v102
	v_fmac_f16_e32 v102, 0x3853, v101
	v_add_f16_e32 v113, v127, v113
	v_add_f16_e32 v101, v119, v106
	;; [unrolled: 1-line block ×5, first 2 shown]
	v_fma_f16 v110, v132, 0xb08e, -v133
	v_mul_f16_e32 v119, 0xb93d, v126
	v_add_f16_e32 v117, v122, v121
	s_delay_alu instid0(VALU_DEP_3) | instskip(SKIP_1) | instid1(VALU_DEP_4)
	v_add_f16_e32 v105, v110, v105
	v_fma_f16 v110, v132, 0xbbad, -v151
	v_fmamk_f16 v121, v124, 0x3a0c, v119
	v_fmac_f16_e32 v119, 0xba0c, v124
	s_delay_alu instid0(VALU_DEP_3) | instskip(SKIP_1) | instid1(VALU_DEP_3)
	v_add_f16_e32 v100, v110, v100
	v_fma_f16 v110, v132, 0x36a6, -v154
	v_add_f16_e32 v102, v119, v102
	v_mul_f16_e32 v119, 0x36a6, v125
	s_delay_alu instid0(VALU_DEP_3) | instskip(SKIP_2) | instid1(VALU_DEP_2)
	v_add_f16_e32 v110, v110, v111
	v_add_f16_e64 v111, v155, v112
	v_mul_f16_e64 v112, 0xb853, v131
	v_add_f16_e64 v111, v160, v111
	s_delay_alu instid0(VALU_DEP_2) | instskip(SKIP_1) | instid1(VALU_DEP_3)
	v_fma_f16 v115, 0x3abb, v132, v112
	v_fma_f16 v112, v132, 0x3abb, -v112
	v_add_f16_e64 v111, v165, v111
	s_delay_alu instid0(VALU_DEP_3) | instskip(SKIP_1) | instid1(VALU_DEP_4)
	v_add_f16_e32 v115, v115, v116
	v_mul_f16_e32 v116, 0x3abb, v126
	v_add_f16_e32 v112, v112, v114
	v_mul_f16_e64 v114, 0xba0c, v131
	v_mul_f16_e64 v126, 0x3b47, v137
	s_delay_alu instid0(VALU_DEP_4) | instskip(SKIP_1) | instid1(VALU_DEP_3)
	v_fmamk_f16 v118, v124, 0x3853, v116
	v_fmac_f16_e32 v116, 0xb853, v124
	v_fmamk_f16 v127, v120, 0x36a6, v126
	v_fma_f16 v126, v120, 0x36a6, -v126
	s_delay_alu instid0(VALU_DEP_4)
	v_add_f16_e32 v113, v118, v113
	v_fma_f16 v118, 0xb93d, v132, v114
	v_fma_f16 v114, v132, 0xb93d, -v114
	v_add_f16_e32 v101, v116, v101
	v_add_f16_e32 v116, v121, v117
	v_fmamk_f16 v121, v67, 0xbb47, v119
	v_add_f16_e32 v106, v118, v106
	v_add_f16_e32 v99, v114, v99
	v_fma_f16 v114, v130, 0xb93d, -v123
	v_fmac_f16_e32 v119, 0x3b47, v67
	s_delay_alu instid0(VALU_DEP_2) | instskip(SKIP_1) | instid1(VALU_DEP_3)
	v_add_f16_e32 v105, v114, v105
	v_fma_f16 v114, v130, 0xb08e, -v157
	v_add_f16_e32 v102, v119, v102
	s_delay_alu instid0(VALU_DEP_3) | instskip(NEXT) | instid1(VALU_DEP_3)
	v_add_f16_e32 v62, v62, v105
	v_add_f16_e32 v100, v114, v100
	v_fma_f16 v114, v130, 0x3abb, -v159
	v_add_f16_e64 v105, v138, v108
	v_fma_f16 v108, v120, 0x3abb, -v161
	s_delay_alu instid0(VALU_DEP_3) | instskip(SKIP_1) | instid1(VALU_DEP_3)
	v_add_f16_e32 v110, v114, v110
	v_mul_f16_e64 v114, 0xb482, v135
	v_add_f16_e32 v100, v108, v100
	v_add_f16_e64 v108, v162, v109
	v_fma_f16 v109, v120, 0xb93d, -v163
	v_pack_b32_f16 v62, v62, v105
	v_fma_f16 v117, 0xbbad, v130, v114
	v_fma_f16 v114, v130, 0xbbad, -v114
	s_delay_alu instid0(VALU_DEP_4) | instskip(SKIP_1) | instid1(VALU_DEP_4)
	v_add_f16_e32 v109, v109, v110
	v_sub_f16_e32 v110, v66, v59
	v_add_f16_e32 v115, v117, v115
	v_mul_f16_e32 v117, 0xbbad, v125
	v_add_f16_e32 v112, v114, v112
	v_mul_f16_e64 v114, 0x3b47, v135
	v_mul_f16_e32 v122, 0xba0c, v110
	v_add_f16_e32 v115, v127, v115
	v_fmamk_f16 v118, v67, 0x3482, v117
	v_fmac_f16_e32 v117, 0xb482, v67
	v_mul_f16_e32 v127, 0x36a6, v63
	v_add_f16_e32 v112, v126, v112
	v_mul_f16_e64 v126, 0xbbeb, v137
	v_add_f16_e32 v113, v118, v113
	v_fma_f16 v118, 0x36a6, v130, v114
	v_fma_f16 v114, v130, 0x36a6, -v114
	v_add_f16_e32 v67, v117, v101
	v_fma_f16 v128, 0xbb47, v61, v127
	v_mul_f16_e32 v63, 0xb08e, v63
	v_add_f16_e32 v101, v118, v106
	v_add_f16_e32 v106, v121, v116
	v_add_f16_e32 v99, v114, v99
	v_add_f16_e32 v114, v65, v58
	v_mul_f16_e32 v116, 0xb853, v110
	v_mul_f16_e32 v118, 0xbb47, v110
	;; [unrolled: 1-line block ×4, first 2 shown]
	v_fmamk_f16 v124, v114, 0xb93d, v122
	v_fmamk_f16 v117, v114, 0x3abb, v116
	v_fma_f16 v116, v114, 0x3abb, -v116
	v_fmamk_f16 v119, v114, 0x36a6, v118
	v_fma_f16 v118, v114, 0x36a6, -v118
	;; [unrolled: 2-line block ×3, first 2 shown]
	v_fma_f16 v122, v114, 0xb93d, -v122
	v_fmamk_f16 v125, v114, 0xbbad, v110
	v_fma_f16 v110, v114, 0xbbad, -v110
	v_add_f16_e32 v114, v107, v117
	v_add_f16_e32 v116, v107, v116
	v_add_f16_e32 v117, v107, v119
	v_add_f16_e32 v118, v107, v118
	v_add_f16_e32 v119, v107, v123
	v_add_f16_e32 v121, v107, v121
	v_add_f16_e32 v123, v107, v124
	v_add_f16_e32 v122, v107, v122
	v_add_f16_e32 v124, v107, v125
	v_add_f16_e32 v110, v107, v110
	v_lshrrev_b32_e32 v125, 16, v107
	v_add_f16_e32 v107, v107, v65
	v_add_f16_e64 v113, v128, v113
	v_fma_f16 v128, 0xb08e, v120, v126
	v_fma_f16 v120, v120, 0xb08e, -v126
	v_fmamk_f16 v126, v61, 0x3beb, v63
	v_fmac_f16_e32 v63, 0xbbeb, v61
	v_sub_f16_e32 v65, v65, v58
	v_fmac_f16_e32 v127, 0x3b47, v61
	v_add_f16_e32 v99, v120, v99
	s_delay_alu instid0(VALU_DEP_4) | instskip(SKIP_1) | instid1(VALU_DEP_4)
	v_add_f16_e32 v63, v63, v102
	v_add_f16_e32 v102, v107, v64
	;; [unrolled: 1-line block ×3, first 2 shown]
	v_add_f16_e64 v67, v128, v101
	v_add_f16_e32 v101, v126, v106
	s_delay_alu instid0(VALU_DEP_4) | instskip(NEXT) | instid1(VALU_DEP_4)
	v_add_f16_e32 v102, v102, v54
	v_pack_b32_f16 v61, v112, v61
	s_delay_alu instid0(VALU_DEP_2) | instskip(NEXT) | instid1(VALU_DEP_1)
	v_add_f16_e32 v102, v102, v52
	v_add_f16_e32 v102, v102, v44
	s_delay_alu instid0(VALU_DEP_1) | instskip(NEXT) | instid1(VALU_DEP_1)
	v_add_f16_e32 v102, v102, v45
	v_add_f16_e32 v102, v102, v56
	s_delay_alu instid0(VALU_DEP_1) | instskip(NEXT) | instid1(VALU_DEP_1)
	v_add_f16_e32 v102, v102, v49
	v_add_f16_e32 v102, v102, v51
	s_delay_alu instid0(VALU_DEP_1) | instskip(SKIP_2) | instid1(VALU_DEP_2)
	v_add_f16_e32 v58, v102, v58
	v_add_f16_e32 v102, v125, v66
	;; [unrolled: 1-line block ×4, first 2 shown]
	s_delay_alu instid0(VALU_DEP_2) | instskip(SKIP_2) | instid1(VALU_DEP_4)
	v_mul_f16_e32 v107, 0x36a6, v66
	v_mul_f16_e32 v126, 0xb08e, v66
	;; [unrolled: 1-line block ×3, first 2 shown]
	v_add_f16_e32 v102, v102, v55
	s_delay_alu instid0(VALU_DEP_4)
	v_fmamk_f16 v120, v65, 0x3b47, v107
	v_fmac_f16_e32 v107, 0xbb47, v65
	v_fma_f16 v128, 0x3beb, v65, v126
	v_fmac_f16_e32 v126, 0xbbeb, v65
	v_add_f16_e32 v102, v102, v53
	v_fma_f16 v129, 0x3a0c, v65, v127
	v_fmac_f16_e32 v127, 0xba0c, v65
	v_add_f16_e32 v107, v125, v107
	v_add_f16_e32 v126, v125, v126
	;; [unrolled: 1-line block ×3, first 2 shown]
	s_delay_alu instid0(VALU_DEP_4) | instskip(NEXT) | instid1(VALU_DEP_2)
	v_add_f16_e32 v127, v125, v127
	v_add_f16_e32 v102, v102, v47
	s_delay_alu instid0(VALU_DEP_1) | instskip(NEXT) | instid1(VALU_DEP_1)
	v_add_f16_e32 v102, v102, v48
	v_add_f16_e32 v102, v102, v50
	s_delay_alu instid0(VALU_DEP_1) | instskip(NEXT) | instid1(VALU_DEP_1)
	v_add_f16_e32 v102, v102, v57
	v_add_f16_e32 v59, v102, v59
	v_sub_f16_e32 v102, v60, v57
	v_add_f16_e32 v57, v60, v57
	v_mul_f16_e32 v60, 0x3abb, v66
	v_mul_f16_e32 v66, 0xbbad, v66
	v_pack_b32_f16 v58, v58, v59
	s_delay_alu instid0(VALU_DEP_3) | instskip(SKIP_1) | instid1(VALU_DEP_4)
	v_fmamk_f16 v106, v65, 0x3853, v60
	v_fmac_f16_e32 v60, 0xb853, v65
	v_fma_f16 v130, 0x3482, v65, v66
	v_fmac_f16_e32 v66, 0xb482, v65
	v_add_f16_e32 v65, v64, v51
	v_sub_f16_e32 v51, v64, v51
	v_add_f16_e32 v64, v125, v106
	v_add_f16_e32 v60, v125, v60
	;; [unrolled: 1-line block ×3, first 2 shown]
	v_add_f16_e64 v120, v125, v128
	v_add_f16_e64 v128, v125, v129
	;; [unrolled: 1-line block ×3, first 2 shown]
	v_add_f16_e32 v66, v125, v66
	v_mul_f16_e32 v125, 0xbb47, v102
	s_delay_alu instid0(VALU_DEP_1) | instskip(SKIP_1) | instid1(VALU_DEP_2)
	v_fma_f16 v130, 0x36a6, v65, v125
	v_fma_f16 v125, v65, 0x36a6, -v125
	v_add_f16_e64 v114, v130, v114
	v_mul_f16_e64 v130, 0x36a6, v57
	s_delay_alu instid0(VALU_DEP_3) | instskip(SKIP_1) | instid1(VALU_DEP_3)
	v_add_f16_e32 v116, v125, v116
	v_mul_f16_e32 v125, 0xba0c, v102
	v_fma_f16 v131, 0x3b47, v51, v130
	v_fmac_f16_e64 v130, 0xbb47, v51
	s_delay_alu instid0(VALU_DEP_2) | instskip(NEXT) | instid1(VALU_DEP_2)
	v_add_f16_e64 v64, v131, v64
	v_add_f16_e64 v60, v130, v60
	v_fma_f16 v130, 0xb93d, v65, v125
	v_fma_f16 v125, v65, 0xb93d, -v125
	s_delay_alu instid0(VALU_DEP_2) | instskip(SKIP_1) | instid1(VALU_DEP_3)
	v_add_f16_e64 v117, v130, v117
	v_mul_f16_e64 v130, 0xb93d, v57
	v_add_f16_e32 v118, v125, v118
	v_mul_f16_e32 v125, 0x3482, v102
	s_delay_alu instid0(VALU_DEP_3) | instskip(SKIP_1) | instid1(VALU_DEP_2)
	v_fma_f16 v131, 0x3a0c, v51, v130
	v_fmac_f16_e64 v130, 0xba0c, v51
	v_add_f16_e64 v106, v131, v106
	s_delay_alu instid0(VALU_DEP_2) | instskip(SKIP_2) | instid1(VALU_DEP_2)
	v_add_f16_e64 v107, v130, v107
	v_fma_f16 v130, 0xbbad, v65, v125
	v_fma_f16 v125, v65, 0xbbad, -v125
	v_add_f16_e64 v119, v130, v119
	v_mul_f16_e64 v130, 0xbbad, v57
	s_delay_alu instid0(VALU_DEP_3) | instskip(NEXT) | instid1(VALU_DEP_2)
	v_add_f16_e32 v121, v125, v121
	v_fma_f16 v131, 0xb482, v51, v130
	v_fmac_f16_e64 v130, 0x3482, v51
	s_delay_alu instid0(VALU_DEP_2) | instskip(NEXT) | instid1(VALU_DEP_2)
	v_add_f16_e64 v120, v131, v120
	v_add_f16_e64 v125, v130, v126
	v_mul_f16_e32 v126, 0x3beb, v102
	v_mul_f16_e32 v102, 0x3853, v102
	s_delay_alu instid0(VALU_DEP_2) | instskip(SKIP_1) | instid1(VALU_DEP_2)
	v_fma_f16 v130, 0xb08e, v65, v126
	v_fma_f16 v126, v65, 0xb08e, -v126
	v_add_f16_e64 v123, v130, v123
	v_mul_f16_e64 v130, 0xb08e, v57
	s_delay_alu instid0(VALU_DEP_3) | instskip(SKIP_1) | instid1(VALU_DEP_3)
	v_add_f16_e32 v122, v126, v122
	v_mul_f16_e32 v57, 0x3abb, v57
	v_fma_f16 v131, 0xbbeb, v51, v130
	v_fmac_f16_e64 v130, 0x3beb, v51
	s_delay_alu instid0(VALU_DEP_2) | instskip(NEXT) | instid1(VALU_DEP_2)
	v_add_f16_e64 v128, v131, v128
	v_add_f16_e64 v126, v130, v127
	v_fmamk_f16 v127, v65, 0x3abb, v102
	s_delay_alu instid0(VALU_DEP_1)
	v_add_f16_e32 v124, v127, v124
	v_sub_f16_e32 v127, v55, v50
	v_add_f16_e32 v50, v55, v50
	v_fma_f16 v55, v65, 0x3abb, -v102
	v_fmamk_f16 v65, v51, 0xb853, v57
	v_fmac_f16_e32 v57, 0x3853, v51
	v_add_f16_e32 v51, v54, v49
	v_sub_f16_e32 v49, v54, v49
	v_mul_f16_e32 v102, 0xb08e, v50
	v_add_f16_e64 v54, v65, v129
	v_mul_f16_e32 v65, 0xbbeb, v127
	v_add_f16_e32 v57, v57, v66
	v_add_f16_e32 v55, v55, v110
	v_fmamk_f16 v110, v49, 0x3beb, v102
	v_fmac_f16_e32 v102, 0xbbeb, v49
	v_fmamk_f16 v66, v51, 0xb08e, v65
	v_fma_f16 v65, v51, 0xb08e, -v65
	s_delay_alu instid0(VALU_DEP_4) | instskip(NEXT) | instid1(VALU_DEP_4)
	v_add_f16_e32 v64, v110, v64
	v_add_f16_e32 v60, v102, v60
	s_delay_alu instid0(VALU_DEP_4) | instskip(SKIP_3) | instid1(VALU_DEP_3)
	v_add_f16_e32 v66, v66, v114
	v_mul_f16_e32 v114, 0xbbad, v50
	v_add_f16_e32 v65, v65, v116
	v_mul_f16_e32 v102, 0x3482, v127
	v_fmamk_f16 v116, v49, 0xb482, v114
	v_fmac_f16_e32 v114, 0x3482, v49
	s_delay_alu instid0(VALU_DEP_3) | instskip(SKIP_1) | instid1(VALU_DEP_4)
	v_fmamk_f16 v110, v51, 0xbbad, v102
	v_fma_f16 v102, v51, 0xbbad, -v102
	v_add_f16_e32 v106, v116, v106
	s_delay_alu instid0(VALU_DEP_4) | instskip(SKIP_4) | instid1(VALU_DEP_4)
	v_add_f16_e32 v107, v114, v107
	v_mul_f16_e32 v114, 0x3b47, v127
	v_add_f16_e32 v110, v110, v117
	v_mul_f16_e32 v117, 0x36a6, v50
	v_add_f16_e32 v102, v102, v118
	v_fmamk_f16 v116, v51, 0x36a6, v114
	v_fma_f16 v114, v51, 0x36a6, -v114
	s_delay_alu instid0(VALU_DEP_4) | instskip(SKIP_1) | instid1(VALU_DEP_4)
	v_fmamk_f16 v118, v49, 0xbb47, v117
	v_fmac_f16_e32 v117, 0x3b47, v49
	v_add_f16_e32 v116, v116, v119
	v_mul_f16_e32 v119, 0xb853, v127
	s_delay_alu instid0(VALU_DEP_4)
	v_add_f16_e32 v118, v118, v120
	v_add_f16_e32 v114, v114, v121
	;; [unrolled: 1-line block ×3, first 2 shown]
	v_mul_f16_e32 v121, 0x3abb, v50
	v_fmamk_f16 v120, v51, 0x3abb, v119
	v_fma_f16 v119, v51, 0x3abb, -v119
	v_mul_f16_e32 v50, 0xb93d, v50
	s_delay_alu instid0(VALU_DEP_3) | instskip(NEXT) | instid1(VALU_DEP_3)
	v_add_f16_e32 v120, v120, v123
	v_add_f16_e32 v119, v119, v122
	v_mul_f16_e32 v122, 0xba0c, v127
	v_fmamk_f16 v123, v49, 0x3853, v121
	v_fmac_f16_e32 v121, 0xb853, v49
	s_delay_alu instid0(VALU_DEP_3) | instskip(SKIP_1) | instid1(VALU_DEP_4)
	v_fmamk_f16 v125, v51, 0xb93d, v122
	v_fma_f16 v51, v51, 0xb93d, -v122
	v_add_f16_e64 v123, v123, v128
	s_delay_alu instid0(VALU_DEP_4) | instskip(NEXT) | instid1(VALU_DEP_4)
	v_add_f16_e32 v121, v121, v126
	v_add_f16_e32 v124, v125, v124
	v_fmamk_f16 v125, v49, 0x3a0c, v50
	v_fmac_f16_e32 v50, 0xba0c, v49
	v_sub_f16_e32 v49, v53, v48
	v_add_f16_e32 v48, v53, v48
	v_add_f16_e32 v53, v52, v56
	;; [unrolled: 1-line block ×3, first 2 shown]
	v_sub_f16_e32 v52, v52, v56
	v_mul_f16_e32 v55, 0xba0c, v49
	v_add_f16_e32 v50, v50, v57
	v_mul_f16_e32 v57, 0xb93d, v48
	v_add_f16_e32 v54, v125, v54
	s_delay_alu instid0(VALU_DEP_4) | instskip(SKIP_1) | instid1(VALU_DEP_2)
	v_fmamk_f16 v56, v53, 0xb93d, v55
	v_fma_f16 v55, v53, 0xb93d, -v55
	v_add_f16_e32 v56, v56, v66
	v_fmamk_f16 v66, v52, 0x3a0c, v57
	v_fmac_f16_e32 v57, 0xba0c, v52
	s_delay_alu instid0(VALU_DEP_4) | instskip(NEXT) | instid1(VALU_DEP_3)
	v_add_f16_e32 v55, v55, v65
	v_add_f16_e32 v64, v66, v64
	s_delay_alu instid0(VALU_DEP_3) | instskip(SKIP_2) | instid1(VALU_DEP_2)
	v_add_f16_e32 v57, v57, v60
	v_mul_f16_e32 v60, 0x3beb, v49
	v_mul_f16_e32 v66, 0xb08e, v48
	v_fmamk_f16 v65, v53, 0xb08e, v60
	v_fma_f16 v60, v53, 0xb08e, -v60
	s_delay_alu instid0(VALU_DEP_2) | instskip(NEXT) | instid1(VALU_DEP_4)
	v_add_f16_e32 v65, v65, v110
	v_fmamk_f16 v110, v52, 0xbbeb, v66
	s_delay_alu instid0(VALU_DEP_3) | instskip(SKIP_2) | instid1(VALU_DEP_4)
	v_add_f16_e32 v60, v60, v102
	v_fmac_f16_e32 v66, 0x3beb, v52
	v_mul_f16_e32 v102, 0xb853, v49
	v_add_f16_e32 v106, v110, v106
	v_mul_f16_e32 v110, 0x3abb, v48
	s_delay_alu instid0(VALU_DEP_4) | instskip(NEXT) | instid1(VALU_DEP_4)
	v_add_f16_e32 v66, v66, v107
	v_fmamk_f16 v107, v53, 0x3abb, v102
	v_fma_f16 v102, v53, 0x3abb, -v102
	s_delay_alu instid0(VALU_DEP_2) | instskip(SKIP_1) | instid1(VALU_DEP_3)
	v_add_f16_e32 v107, v107, v116
	v_fmamk_f16 v116, v52, 0x3853, v110
	v_add_f16_e32 v102, v102, v114
	v_fmac_f16_e32 v110, 0xb853, v52
	v_mul_f16_e32 v114, 0xb482, v49
	v_mul_f16_e32 v49, 0x3b47, v49
	v_add_f16_e32 v116, v116, v118
	v_mul_f16_e32 v118, 0xbbad, v48
	v_add_f16_e32 v110, v110, v117
	v_fmamk_f16 v117, v53, 0xbbad, v114
	v_fma_f16 v114, v53, 0xbbad, -v114
	s_delay_alu instid0(VALU_DEP_2) | instskip(NEXT) | instid1(VALU_DEP_2)
	v_add_f16_e32 v117, v117, v120
	v_add_f16_e32 v114, v114, v119
	v_fmamk_f16 v119, v53, 0x36a6, v49
	v_fma_f16 v49, v53, 0x36a6, -v49
	v_sub_f16_e32 v53, v46, v47
	v_add_f16_e32 v46, v46, v47
	v_mul_f16_e32 v47, 0x36a6, v48
	v_fmamk_f16 v120, v52, 0x3482, v118
	v_fmac_f16_e32 v118, 0xb482, v52
	v_add_f16_e32 v119, v119, v124
	s_delay_alu instid0(VALU_DEP_4)
	v_fmamk_f16 v48, v52, 0xbb47, v47
	v_fmac_f16_e32 v47, 0x3b47, v52
	v_add_f16_e32 v52, v44, v45
	v_sub_f16_e32 v44, v44, v45
	v_add_f16_e32 v120, v120, v123
	v_add_f16_e32 v45, v48, v54
	;; [unrolled: 1-line block ×3, first 2 shown]
	v_mul_f16_e32 v49, 0xb482, v53
	v_add_f16_e32 v47, v47, v50
	v_mul_f16_e32 v51, 0xbbad, v46
	v_add_f16_e32 v118, v118, v121
	s_delay_alu instid0(VALU_DEP_4) | instskip(SKIP_1) | instid1(VALU_DEP_4)
	v_fmamk_f16 v50, v52, 0xbbad, v49
	v_fma_f16 v49, v52, 0xbbad, -v49
	v_fmamk_f16 v54, v44, 0x3482, v51
	v_fmac_f16_e32 v51, 0xb482, v44
	s_delay_alu instid0(VALU_DEP_4) | instskip(NEXT) | instid1(VALU_DEP_4)
	v_add_f16_e32 v50, v50, v56
	v_add_f16_e32 v49, v49, v55
	v_mul_f16_e32 v55, 0x3853, v53
	s_delay_alu instid0(VALU_DEP_4) | instskip(SKIP_2) | instid1(VALU_DEP_4)
	v_add_f16_e32 v51, v51, v57
	v_mul_f16_e32 v57, 0x3abb, v46
	v_add_f16_e32 v54, v54, v64
	v_fmamk_f16 v56, v52, 0x3abb, v55
	v_fma_f16 v55, v52, 0x3abb, -v55
	s_delay_alu instid0(VALU_DEP_4)
	v_fmamk_f16 v64, v44, 0xb853, v57
	v_fmac_f16_e32 v57, 0x3853, v44
	v_pack_b32_f16 v50, v50, v54
	v_add_f16_e32 v56, v56, v65
	v_add_f16_e32 v55, v55, v60
	v_mul_f16_e32 v60, 0xba0c, v53
	v_add_f16_e32 v57, v57, v66
	v_mul_f16_e32 v66, 0xb93d, v46
	v_add_f16_e32 v64, v64, v106
	v_pack_b32_f16 v49, v49, v51
	v_fmamk_f16 v65, v52, 0xb93d, v60
	v_fma_f16 v60, v52, 0xb93d, -v60
	v_fmamk_f16 v106, v44, 0x3a0c, v66
	v_fmac_f16_e32 v66, 0xba0c, v44
	s_delay_alu instid0(VALU_DEP_4) | instskip(NEXT) | instid1(VALU_DEP_4)
	v_add_f16_e32 v65, v65, v107
	v_add_f16_e32 v60, v60, v102
	v_mul_f16_e32 v102, 0x3b47, v53
	s_delay_alu instid0(VALU_DEP_4)
	v_add_f16_e32 v66, v66, v110
	v_mul_f16_e32 v110, 0x36a6, v46
	v_mul_f16_e32 v53, 0xbbeb, v53
	;; [unrolled: 1-line block ×3, first 2 shown]
	v_fmamk_f16 v107, v52, 0x36a6, v102
	v_fma_f16 v102, v52, 0x36a6, -v102
	v_add_f16_e32 v106, v106, v116
	v_fmamk_f16 v116, v44, 0xbb47, v110
	v_fmac_f16_e32 v110, 0x3b47, v44
	v_add_f16_e32 v107, v107, v117
	v_add_f16_e32 v102, v102, v114
	v_fmamk_f16 v114, v52, 0xb08e, v53
	v_fma_f16 v52, v52, 0xb08e, -v53
	v_fmamk_f16 v53, v44, 0x3beb, v46
	v_fmac_f16_e32 v46, 0xbbeb, v44
	v_add_f16_e32 v116, v116, v120
	v_add_f16_e32 v44, v110, v118
	;; [unrolled: 1-line block ×3, first 2 shown]
	v_pack_b32_f16 v52, v67, v101
	v_add_f16_e32 v46, v46, v47
	v_pack_b32_f16 v47, v115, v113
	v_add_f16_e32 v110, v114, v119
	v_add_f16_e32 v45, v53, v45
	v_pack_b32_f16 v53, v99, v63
	v_pack_b32_f16 v63, v109, v111
	;; [unrolled: 1-line block ×3, first 2 shown]
	ds_store_2addr_b32 v223, v47, v52 offset0:28 offset1:35
	ds_store_2addr_b32 v223, v53, v61 offset0:42 offset1:49
	;; [unrolled: 1-line block ×3, first 2 shown]
	ds_store_b32 v223, v62 offset:280
	ds_store_2addr_b32 v225, v58, v50 offset1:7
	v_pack_b32_f16 v47, v56, v64
	v_pack_b32_f16 v50, v65, v106
	;; [unrolled: 1-line block ×8, first 2 shown]
	ds_store_2addr_b32 v225, v47, v50 offset0:14 offset1:21
	ds_store_2addr_b32 v225, v52, v45 offset0:28 offset1:35
	;; [unrolled: 1-line block ×4, first 2 shown]
	ds_store_b32 v225, v49 offset:280
	s_and_saveexec_b32 s0, vcc_lo
	s_cbranch_execz .LBB0_9
; %bb.8:
	v_lshrrev_b32_e32 v44, 16, v5
	v_lshrrev_b32_e32 v47, 16, v6
	;; [unrolled: 1-line block ×5, first 2 shown]
	v_mul_f16_e32 v46, v44, v93
	v_mul_f16_e64 v44, v44, v236
	v_mul_f16_e64 v45, v47, v237
	v_mul_f16_e32 v49, v47, v94
	v_mul_f16_e32 v47, v48, v104
	v_mul_f16_e64 v58, v48, v168
	v_fmac_f16_e32 v44, v5, v93
	v_fma_f16 v48, v5, v236, -v46
	v_mul_f16_e32 v5, v50, v91
	v_fma_f16 v47, v4, v168, -v47
	v_fmac_f16_e32 v58, v4, v104
	v_lshrrev_b32_e32 v4, 16, v90
	v_mul_f16_e64 v51, v52, v231
	v_mul_f16_e32 v53, v52, v97
	v_lshrrev_b32_e32 v52, 16, v2
	v_fma_f16 v46, v6, v237, -v49
	v_fma_f16 v49, v7, v238, -v5
	v_mul_f16_e64 v5, v4, v230
	v_fmac_f16_e32 v45, v6, v94
	v_mul_f16_e32 v55, v52, v96
	v_mul_f16_e64 v50, v50, v238
	v_mul_f16_e64 v4, v4, v234
	v_lshrrev_b32_e32 v6, 16, v89
	v_fma_f16 v5, v90, v234, -v5
	v_fmac_f16_e32 v51, v3, v97
	v_lshrrev_b32_e32 v61, 16, v1
	v_fma_f16 v3, v3, v231, -v53
	v_fma_f16 v53, v2, v232, -v55
	v_lshrrev_b32_e32 v55, 16, v0
	v_fmac_f16_e32 v50, v7, v91
	v_mul_f16_e32 v7, v6, v98
	v_fmac_f16_e64 v4, v90, v230
	v_mul_f16_e64 v52, v52, v232
	v_mul_f16_e32 v56, v61, v95
	v_mul_f16_e32 v59, v55, v92
	v_sub_f16_e32 v60, v47, v5
	v_mul_f16_e64 v57, v55, v229
	v_mul_f16_e64 v55, v61, v228
	;; [unrolled: 1-line block ×3, first 2 shown]
	v_fma_f16 v7, v89, v233, -v7
	v_add_f16_e32 v54, v5, v47
	v_fmac_f16_e32 v52, v2, v96
	v_fma_f16 v2, v1, v228, -v56
	v_fma_f16 v56, v0, v229, -v59
	v_add_f16_e32 v59, v4, v58
	v_mul_f16_e32 v61, 0xb482, v60
	v_fmac_f16_e32 v57, v0, v92
	v_fmac_f16_e32 v55, v1, v95
	v_mul_f16_e32 v0, 0xba0c, v60
	v_mul_f16_e32 v1, 0xbbeb, v60
	;; [unrolled: 1-line block ×4, first 2 shown]
	v_fmac_f16_e32 v6, v89, v98
	v_fmamk_f16 v63, v59, 0xbbad, v61
	v_fmamk_f16 v64, v59, 0xb93d, v0
	;; [unrolled: 1-line block ×5, first 2 shown]
	v_fma_f16 v61, v59, 0xbbad, -v61
	v_fma_f16 v0, v59, 0xb93d, -v0
	;; [unrolled: 1-line block ×5, first 2 shown]
	v_mul_f16_e32 v60, 0xbbad, v54
	v_sub_f16_e32 v89, v58, v4
	v_add_f16_e32 v90, v7, v48
	v_sub_f16_e32 v93, v44, v6
	v_add_f16_e32 v94, v3, v46
	v_sub_f16_e32 v97, v45, v51
	v_fmamk_f16 v91, v89, 0x3482, v60
	v_mul_f16_e32 v92, 0x3abb, v90
	v_sub_f16_e32 v99, v50, v52
	v_mul_f16_e32 v96, 0xb93d, v94
	v_add_f16_e32 v101, v6, v44
	v_add_f16_e64 v91, v166, v91
	v_fmamk_f16 v95, v93, 0xb853, v92
	v_add_f16_e32 v63, v103, v63
	v_add_f16_e32 v64, v103, v64
	;; [unrolled: 1-line block ×5, first 2 shown]
	v_fmamk_f16 v95, v97, 0x3a0c, v96
	v_add_f16_e32 v67, v103, v67
	v_add_f16_e32 v61, v103, v61
	;; [unrolled: 1-line block ×9, first 2 shown]
	v_sub_f16_e32 v105, v57, v55
	v_mul_f16_e32 v98, 0x36a6, v95
	v_add_f16_e32 v107, v51, v45
	v_add_f16_e32 v110, v52, v50
	v_mul_f16_e32 v114, 0xb08e, v90
	v_add_f16_e32 v116, v55, v57
	v_fmamk_f16 v100, v99, 0xbb47, v98
	v_mul_f16_e32 v126, 0xbbad, v90
	v_mul_f16_e64 v136, 0xb93d, v90
	v_fmamk_f16 v115, v93, 0xbbeb, v114
	v_add_f16_e64 v47, v47, v166
	v_add_f16_e32 v91, v100, v91
	v_sub_f16_e32 v100, v48, v7
	v_fmamk_f16 v127, v93, 0xb482, v126
	v_fma_f16 v137, 0x3a0c, v93, v136
	v_add_f16_e32 v44, v44, v58
	v_add_f16_e32 v47, v48, v47
	v_mul_f16_e32 v102, 0x3853, v100
	v_mul_f16_e32 v90, 0x36a6, v90
	v_fmac_f16_e32 v60, 0xb482, v89
	v_add_f16_e32 v44, v45, v44
	v_fmac_f16_e32 v92, 0x3853, v93
	v_fmamk_f16 v103, v101, 0x3abb, v102
	v_fma_f16 v153, 0x3b47, v93, v90
	v_fmac_f16_e32 v114, 0x3beb, v93
	v_add_f16_e32 v44, v50, v44
	v_fmac_f16_e32 v126, 0x3482, v93
	v_add_f16_e32 v63, v103, v63
	v_add_f16_e32 v103, v2, v56
	v_fmac_f16_e64 v136, 0xba0c, v93
	v_add_f16_e32 v44, v57, v44
	v_fmac_f16_e32 v90, 0xbb47, v93
	v_fmac_f16_e32 v96, 0xba0c, v97
	v_mul_f16_e32 v104, 0xb08e, v103
	v_fmac_f16_e32 v98, 0x3b47, v99
	v_add_f16_e32 v44, v55, v44
	v_mul_f16_e32 v55, 0xbbad, v103
	s_delay_alu instid0(VALU_DEP_4) | instskip(SKIP_1) | instid1(VALU_DEP_4)
	v_fmamk_f16 v106, v105, 0x3beb, v104
	v_fmac_f16_e32 v104, 0xbbeb, v105
	v_add_f16_e32 v44, v52, v44
	s_delay_alu instid0(VALU_DEP_3) | instskip(SKIP_2) | instid1(VALU_DEP_4)
	v_add_f16_e32 v91, v106, v91
	v_sub_f16_e32 v106, v46, v3
	v_add_f16_e32 v46, v46, v47
	v_add_f16_e32 v44, v51, v44
	v_mul_f16_e32 v47, 0xb93d, v95
	s_delay_alu instid0(VALU_DEP_4) | instskip(NEXT) | instid1(VALU_DEP_4)
	v_mul_f16_e32 v108, 0xba0c, v106
	v_add_f16_e32 v46, v49, v46
	s_delay_alu instid0(VALU_DEP_3) | instskip(SKIP_1) | instid1(VALU_DEP_4)
	v_fmamk_f16 v50, v99, 0x3a0c, v47
	v_fmac_f16_e32 v47, 0xba0c, v99
	v_fmamk_f16 v109, v107, 0xb93d, v108
	s_delay_alu instid0(VALU_DEP_4) | instskip(NEXT) | instid1(VALU_DEP_2)
	v_add_f16_e32 v46, v56, v46
	v_add_f16_e32 v63, v109, v63
	v_sub_f16_e32 v109, v49, v53
	v_mul_f16_e32 v49, 0xbb47, v100
	s_delay_alu instid0(VALU_DEP_2) | instskip(NEXT) | instid1(VALU_DEP_2)
	v_mul_f16_e32 v111, 0x3b47, v109
	v_fmamk_f16 v57, v101, 0x36a6, v49
	v_mul_f16_e32 v51, 0xba0c, v109
	v_fma_f16 v49, v101, 0x36a6, -v49
	s_delay_alu instid0(VALU_DEP_4) | instskip(NEXT) | instid1(VALU_DEP_4)
	v_fmamk_f16 v112, v110, 0x36a6, v111
	v_add_f16_e32 v57, v57, v67
	s_delay_alu instid0(VALU_DEP_3) | instskip(NEXT) | instid1(VALU_DEP_3)
	v_add_f16_e32 v49, v49, v59
	v_add_f16_e32 v63, v112, v63
	v_mul_f16_e32 v112, 0xb93d, v54
	s_delay_alu instid0(VALU_DEP_1) | instskip(SKIP_1) | instid1(VALU_DEP_2)
	v_fmamk_f16 v113, v89, 0x3a0c, v112
	v_fmac_f16_e32 v112, 0xba0c, v89
	v_add_f16_e64 v113, v166, v113
	s_delay_alu instid0(VALU_DEP_1)
	v_add_f16_e32 v113, v115, v113
	v_sub_f16_e32 v115, v56, v2
	v_add_f16_e32 v2, v2, v46
	v_mul_f16_e32 v46, 0xbbeb, v106
	v_fmamk_f16 v56, v105, 0x3482, v55
	v_fmac_f16_e32 v55, 0xb482, v105
	v_mul_f16_e32 v117, 0xbbeb, v115
	v_add_f16_e32 v2, v53, v2
	v_fmamk_f16 v52, v107, 0xb08e, v46
	v_fmamk_f16 v53, v110, 0xb93d, v51
	v_fma_f16 v46, v107, 0xb08e, -v46
	v_fmamk_f16 v118, v116, 0xb08e, v117
	v_add_f16_e32 v2, v3, v2
	v_add_f16_e32 v52, v52, v57
	;; [unrolled: 1-line block ×3, first 2 shown]
	v_mul_f16_e32 v6, 0xb482, v115
	v_add_f16_e32 v63, v118, v63
	v_mul_f16_e32 v118, 0x3abb, v94
	v_add_f16_e32 v2, v7, v2
	v_add_f16_e32 v52, v53, v52
	v_fmamk_f16 v44, v116, 0xbbad, v6
	v_add_f16_e32 v46, v46, v49
	v_fmamk_f16 v119, v97, 0x3853, v118
	v_add_f16_e32 v2, v5, v2
	v_fma_f16 v5, v101, 0x3abb, -v102
	v_add_f16_e32 v44, v44, v52
	v_fma_f16 v52, v107, 0xb93d, -v108
	v_add_f16_e32 v113, v119, v113
	v_mul_f16_e32 v119, 0xbbad, v95
	v_add_f16_e32 v5, v5, v61
	v_fma_f16 v49, v110, 0xb93d, -v51
	v_add_f16_e32 v3, v4, v3
	v_add_f16_e64 v4, v166, v60
	v_fmamk_f16 v120, v99, 0x3482, v119
	v_add_f16_e32 v5, v52, v5
	v_fma_f16 v52, v110, 0x36a6, -v111
	v_add_f16_e32 v46, v49, v46
	v_add_f16_e64 v7, v166, v112
	v_add_f16_e32 v113, v120, v113
	v_mul_f16_e32 v120, 0x3beb, v100
	v_add_f16_e32 v5, v52, v5
	v_fma_f16 v52, v116, 0xb08e, -v117
	v_add_f16_e32 v4, v92, v4
	v_add_f16_e32 v7, v114, v7
	v_fmamk_f16 v121, v101, 0xb08e, v120
	v_fmac_f16_e32 v118, 0xb853, v97
	v_add_f16_e32 v5, v52, v5
	v_fma_f16 v52, v101, 0xb08e, -v120
	v_mul_f16_e32 v45, 0x3853, v115
	v_add_f16_e32 v64, v121, v64
	v_mul_f16_e32 v121, 0x36a6, v103
	v_add_f16_e32 v4, v96, v4
	v_add_f16_e32 v0, v52, v0
	;; [unrolled: 1-line block ×3, first 2 shown]
	v_fmac_f16_e32 v119, 0xb482, v99
	v_fmamk_f16 v122, v105, 0xbb47, v121
	v_fmamk_f16 v48, v116, 0x3abb, v45
	v_add_f16_e32 v4, v98, v4
	v_fmac_f16_e32 v121, 0x3b47, v105
	v_add_f16_e32 v7, v119, v7
	v_add_f16_e32 v113, v122, v113
	v_mul_f16_e32 v122, 0xb853, v106
	v_fma_f16 v45, v116, 0x3abb, -v45
	v_fma_f16 v6, v116, 0xbbad, -v6
	v_pack_b32_f16 v2, v3, v2
	v_add_f16_e32 v4, v104, v4
	v_fmamk_f16 v123, v107, 0x3abb, v122
	v_fma_f16 v52, v107, 0x3abb, -v122
	v_add_f16_e32 v7, v121, v7
	v_add_f16_e32 v6, v6, v46
	v_pack_b32_f16 v4, v5, v4
	v_add_f16_e32 v64, v123, v64
	v_mul_f16_e32 v123, 0xb482, v109
	v_add_f16_e32 v0, v52, v0
	scratch_load_b32 v49, off, off offset:160 th:TH_LOAD_LU ; 4-byte Folded Reload
	v_fmamk_f16 v124, v110, 0xbbad, v123
	v_fma_f16 v53, v110, 0xbbad, -v123
	s_delay_alu instid0(VALU_DEP_2) | instskip(SKIP_1) | instid1(VALU_DEP_3)
	v_add_f16_e32 v64, v124, v64
	v_mul_f16_e32 v124, 0xb08e, v54
	v_add_f16_e32 v0, v53, v0
	s_delay_alu instid0(VALU_DEP_2) | instskip(SKIP_1) | instid1(VALU_DEP_2)
	v_fmamk_f16 v125, v89, 0x3beb, v124
	v_fmac_f16_e32 v124, 0xbbeb, v89
	v_add_f16_e64 v125, v166, v125
	s_delay_alu instid0(VALU_DEP_2) | instskip(NEXT) | instid1(VALU_DEP_2)
	v_add_f16_e64 v52, v166, v124
	v_add_f16_e32 v125, v127, v125
	v_mul_f16_e32 v127, 0x3b47, v115
	s_delay_alu instid0(VALU_DEP_3) | instskip(NEXT) | instid1(VALU_DEP_2)
	v_add_f16_e32 v52, v126, v52
	v_fma_f16 v128, 0x36a6, v116, v127
	s_delay_alu instid0(VALU_DEP_1) | instskip(SKIP_1) | instid1(VALU_DEP_2)
	v_add_f16_e64 v64, v128, v64
	v_mul_f16_e64 v128, 0x36a6, v94
	v_pack_b32_f16 v46, v64, v113
	s_delay_alu instid0(VALU_DEP_2) | instskip(SKIP_1) | instid1(VALU_DEP_2)
	v_fma_f16 v129, 0xbb47, v97, v128
	v_fmac_f16_e64 v128, 0x3b47, v97
	v_add_f16_e64 v125, v129, v125
	v_mul_f16_e64 v129, 0x3abb, v95
	s_delay_alu instid0(VALU_DEP_3) | instskip(NEXT) | instid1(VALU_DEP_2)
	v_add_f16_e64 v52, v128, v52
	v_fma_f16 v130, 0x3853, v99, v129
	v_fmac_f16_e64 v129, 0xb853, v99
	s_delay_alu instid0(VALU_DEP_2) | instskip(SKIP_1) | instid1(VALU_DEP_3)
	v_add_f16_e64 v125, v130, v125
	v_mul_f16_e64 v130, 0x3482, v100
	v_add_f16_e64 v52, v129, v52
	s_delay_alu instid0(VALU_DEP_2) | instskip(SKIP_1) | instid1(VALU_DEP_2)
	v_fma_f16 v131, 0xbbad, v101, v130
	v_fma_f16 v53, v101, 0xbbad, -v130
	v_add_f16_e64 v65, v131, v65
	v_mul_f16_e64 v131, 0xb93d, v103
	s_delay_alu instid0(VALU_DEP_3) | instskip(SKIP_1) | instid1(VALU_DEP_3)
	v_add_f16_e32 v1, v53, v1
	v_fma_f16 v53, v116, 0x36a6, -v127
	v_fma_f16 v132, 0x3a0c, v105, v131
	v_fmac_f16_e64 v131, 0xba0c, v105
	s_delay_alu instid0(VALU_DEP_3) | instskip(NEXT) | instid1(VALU_DEP_3)
	v_add_f16_e32 v0, v53, v0
	v_add_f16_e64 v125, v132, v125
	v_mul_f16_e64 v132, 0x3b47, v106
	s_delay_alu instid0(VALU_DEP_4) | instskip(NEXT) | instid1(VALU_DEP_4)
	v_add_f16_e64 v52, v131, v52
	v_pack_b32_f16 v0, v0, v7
	s_delay_alu instid0(VALU_DEP_3) | instskip(SKIP_1) | instid1(VALU_DEP_2)
	v_fma_f16 v133, 0x36a6, v107, v132
	v_fma_f16 v53, v107, 0x36a6, -v132
	v_add_f16_e64 v65, v133, v65
	v_mul_f16_e64 v133, 0xb853, v109
	s_delay_alu instid0(VALU_DEP_3) | instskip(NEXT) | instid1(VALU_DEP_2)
	v_add_f16_e32 v1, v53, v1
	v_fma_f16 v134, 0x3abb, v110, v133
	v_fma_f16 v53, v110, 0x3abb, -v133
	s_delay_alu instid0(VALU_DEP_2) | instskip(SKIP_2) | instid1(VALU_DEP_4)
	v_add_f16_e64 v65, v134, v65
	v_mul_f16_e64 v134, 0x36a6, v54
	v_mul_f16_e32 v54, 0x3abb, v54
	v_add_f16_e32 v1, v53, v1
	s_delay_alu instid0(VALU_DEP_3) | instskip(SKIP_1) | instid1(VALU_DEP_2)
	v_fma_f16 v135, 0x3b47, v89, v134
	v_fmac_f16_e64 v134, 0xbb47, v89
	v_add_f16_e64 v135, v166, v135
	s_delay_alu instid0(VALU_DEP_2) | instskip(NEXT) | instid1(VALU_DEP_2)
	v_add_f16_e64 v53, v166, v134
	v_add_f16_e64 v135, v137, v135
	v_mul_f16_e64 v137, 0xba0c, v115
	s_delay_alu instid0(VALU_DEP_3) | instskip(NEXT) | instid1(VALU_DEP_2)
	v_add_f16_e64 v53, v136, v53
	v_fma_f16 v138, 0xb93d, v116, v137
	s_delay_alu instid0(VALU_DEP_1) | instskip(SKIP_2) | instid1(VALU_DEP_2)
	v_add_f16_e64 v65, v138, v65
	v_mul_f16_e64 v138, 0xbbad, v94
	v_mul_f16_e32 v94, 0xb08e, v94
	v_fma_f16 v142, 0xb482, v97, v138
	v_fmac_f16_e64 v138, 0x3482, v97
	s_delay_alu instid0(VALU_DEP_2) | instskip(SKIP_1) | instid1(VALU_DEP_3)
	v_add_f16_e64 v135, v142, v135
	v_mul_f16_e64 v142, 0xb08e, v95
	v_add_f16_e64 v53, v138, v53
	s_delay_alu instid0(VALU_DEP_2) | instskip(SKIP_1) | instid1(VALU_DEP_2)
	v_fma_f16 v144, 0xbbeb, v99, v142
	v_fmac_f16_e64 v142, 0x3beb, v99
	v_add_f16_e64 v135, v144, v135
	v_mul_f16_e64 v144, 0xba0c, v100
	s_delay_alu instid0(VALU_DEP_3) | instskip(NEXT) | instid1(VALU_DEP_2)
	v_add_f16_e64 v53, v142, v53
	v_fma_f16 v146, 0xb93d, v101, v144
	s_delay_alu instid0(VALU_DEP_1) | instskip(SKIP_1) | instid1(VALU_DEP_1)
	v_add_f16_e64 v66, v146, v66
	v_mul_f16_e64 v146, 0x3482, v106
	v_fma_f16 v148, 0xbbad, v107, v146
	v_fma_f16 v57, v107, 0xbbad, -v146
	s_delay_alu instid0(VALU_DEP_2) | instskip(SKIP_1) | instid1(VALU_DEP_1)
	v_add_f16_e64 v66, v148, v66
	v_mul_f16_e64 v148, 0x3abb, v103
	v_fma_f16 v151, 0xb853, v105, v148
	v_fmac_f16_e64 v148, 0x3853, v105
	s_delay_alu instid0(VALU_DEP_2) | instskip(SKIP_2) | instid1(VALU_DEP_2)
	v_add_f16_e64 v135, v151, v135
	v_fma_f16 v151, 0x3853, v89, v54
	v_fmac_f16_e32 v54, 0xb853, v89
	v_add_f16_e64 v151, v166, v151
	s_delay_alu instid0(VALU_DEP_2) | instskip(NEXT) | instid1(VALU_DEP_2)
	v_add_f16_e64 v54, v166, v54
	v_add_f16_e64 v151, v153, v151
	v_mul_f16_e64 v153, 0x3beb, v109
	s_delay_alu instid0(VALU_DEP_3) | instskip(NEXT) | instid1(VALU_DEP_2)
	v_add_f16_e32 v54, v90, v54
	v_fma_f16 v154, 0xb08e, v110, v153
	s_delay_alu instid0(VALU_DEP_1) | instskip(SKIP_2) | instid1(VALU_DEP_3)
	v_add_f16_e64 v66, v154, v66
	v_fma_f16 v154, 0x3beb, v97, v94
	v_fmac_f16_e32 v94, 0xbbeb, v97
	v_add_f16_e32 v48, v48, v66
	s_delay_alu instid0(VALU_DEP_3) | instskip(NEXT) | instid1(VALU_DEP_3)
	v_add_f16_e64 v151, v154, v151
	v_add_f16_e32 v54, v94, v54
	s_delay_alu instid0(VALU_DEP_2) | instskip(NEXT) | instid1(VALU_DEP_2)
	v_add_f16_e64 v50, v50, v151
	v_add_f16_e32 v47, v47, v54
	s_delay_alu instid0(VALU_DEP_2) | instskip(SKIP_1) | instid1(VALU_DEP_3)
	v_add_f16_e32 v50, v56, v50
	v_fma_f16 v56, v116, 0xb93d, -v137
	v_add_f16_e32 v47, v55, v47
	s_delay_alu instid0(VALU_DEP_3) | instskip(NEXT) | instid1(VALU_DEP_3)
	v_pack_b32_f16 v3, v44, v50
	v_add_f16_e32 v1, v56, v1
	v_fma_f16 v56, v101, 0xb93d, -v144
	v_add_f16_e64 v44, v148, v53
	v_pack_b32_f16 v6, v6, v47
	s_delay_alu instid0(VALU_DEP_4) | instskip(NEXT) | instid1(VALU_DEP_4)
	v_pack_b32_f16 v1, v1, v52
	v_add_f16_e32 v56, v56, v62
	s_delay_alu instid0(VALU_DEP_1) | instskip(SKIP_1) | instid1(VALU_DEP_1)
	v_add_f16_e32 v56, v57, v56
	v_fma_f16 v57, v110, 0xb08e, -v153
	v_add_f16_e32 v56, v57, v56
	scratch_load_b32 v57, off, off offset:164 th:TH_LOAD_LU ; 4-byte Folded Reload
	v_add_f16_e32 v45, v45, v56
	s_delay_alu instid0(VALU_DEP_1) | instskip(SKIP_2) | instid1(VALU_DEP_1)
	v_pack_b32_f16 v5, v45, v44
	s_wait_loadcnt 0x0
	v_and_b32_e32 v57, 0xffff, v57
	v_mul_u32_u24_e32 v51, 0x4d, v57
	s_delay_alu instid0(VALU_DEP_1)
	v_add_lshl_u32 v49, v51, v49, 2
	ds_store_2addr_b32 v49, v2, v3 offset1:7
	v_pack_b32_f16 v2, v48, v135
	v_pack_b32_f16 v3, v65, v125
	;; [unrolled: 1-line block ×3, first 2 shown]
	ds_store_2addr_b32 v49, v2, v3 offset0:14 offset1:21
	ds_store_2addr_b32 v49, v46, v48 offset0:28 offset1:35
	;; [unrolled: 1-line block ×4, first 2 shown]
	ds_store_b32 v49, v6 offset:280
.LBB0_9:
	s_wait_alu 0xfffe
	s_or_b32 exec_lo, exec_lo, s0
	v_add_nc_u32_e32 v46, 0x400, v139
	v_add_nc_u32_e32 v51, 0xc00, v139
	v_add_nc_u32_e32 v48, 0x1000, v139
	v_add_nc_u32_e32 v44, 0x1800, v139
	global_wb scope:SCOPE_SE
	s_wait_dscnt 0x0
	s_barrier_signal -1
	s_barrier_wait -1
	global_inv scope:SCOPE_SE
	ds_load_2addr_b32 v[4:5], v139 offset1:55
	ds_load_2addr_b32 v[0:1], v46 offset0:74 offset1:129
	ds_load_2addr_b32 v[57:58], v51 offset0:2 offset1:57
	ds_load_2addr_b32 v[59:60], v48 offset0:76 offset1:131
	ds_load_2addr_b32 v[61:62], v44 offset0:4 offset1:59
	ds_load_2addr_b32 v[63:64], v46 offset0:184 offset1:239
	ds_load_2addr_b32 v[65:66], v48 offset0:186 offset1:241
	ds_load_2addr_b32 v[2:3], v139 offset0:110 offset1:165
	v_lshrrev_b32_e32 v118, 16, v9
	v_lshrrev_b32_e32 v116, 16, v8
	ds_load_2addr_b32 v[89:90], v51 offset0:112 offset1:167
	v_add_nc_u32_e32 v49, 0x800, v139
	v_add_nc_u32_e32 v50, 0x1400, v139
	v_lshrrev_b32_e32 v120, 16, v10
	ds_load_2addr_b32 v[91:92], v44 offset0:114 offset1:169
	ds_load_2addr_b32 v[93:94], v49 offset0:38 offset1:93
	;; [unrolled: 1-line block ×3, first 2 shown]
	v_add_nc_u32_e32 v45, 0xe00, v139
	v_add_nc_u32_e32 v47, 0x1a00, v139
	v_add_nc_u32_e32 v52, 0x200, v139
	s_mov_b32 s8, 0xebc93598
	s_wait_dscnt 0xb
	v_lshrrev_b32_e32 v56, 16, v4
	s_wait_dscnt 0xa
	v_lshrrev_b32_e32 v67, 16, v1
	;; [unrolled: 2-line block ×3, first 2 shown]
	v_mul_f16_e32 v105, v118, v57
	v_lshrrev_b32_e32 v101, 16, v58
	s_wait_dscnt 0x6
	v_lshrrev_b32_e32 v100, 16, v63
	v_mul_f16_e32 v104, v116, v1
	v_mul_f16_e32 v118, v118, v97
	v_mul_f16_e32 v116, v116, v67
	v_fma_f16 v119, v9, v97, -v105
	v_lshrrev_b32_e32 v107, 16, v62
	v_fma_f16 v117, v8, v67, -v104
	v_fmac_f16_e32 v118, v9, v57
	v_lshrrev_b32_e32 v9, 16, v29
	v_lshrrev_b32_e32 v57, 16, v28
	v_fmac_f16_e32 v116, v8, v1
	v_lshrrev_b32_e32 v108, 16, v64
	v_lshrrev_b32_e32 v98, 16, v60
	v_mul_f16_e32 v122, v9, v101
	v_mul_f16_e32 v8, v57, v63
	;; [unrolled: 1-line block ×4, first 2 shown]
	v_lshrrev_b32_e32 v57, 16, v31
	v_lshrrev_b32_e32 v99, 16, v61
	v_mul_f16_e32 v67, v120, v60
	v_fma_f16 v126, v29, v101, -v9
	v_lshrrev_b32_e32 v97, 16, v11
	v_mul_f16_e32 v9, v57, v62
	v_mul_f16_e32 v124, v57, v107
	s_wait_dscnt 0x5
	v_lshrrev_b32_e32 v110, 16, v66
	ds_load_2addr_b32 v[102:103], v45 offset0:94 offset1:149
	v_mul_f16_e32 v120, v120, v98
	v_fma_f16 v107, v31, v107, -v9
	v_lshrrev_b32_e32 v9, 16, v40
	v_fma_f16 v98, v10, v98, -v67
	v_mul_f16_e32 v67, v97, v61
	v_mul_f16_e32 v121, v97, v99
	s_wait_dscnt 0x4
	v_lshrrev_b32_e32 v109, 16, v89
	v_mul_f16_e64 v128, v9, v108
	v_mul_f16_e32 v9, v9, v64
	v_fmac_f16_e32 v120, v10, v60
	v_fma_f16 v60, v11, v99, -v67
	v_fmac_f16_e32 v121, v11, v61
	ds_load_2addr_b32 v[10:11], v49 offset0:148 offset1:203
	v_fma_f16 v108, v40, v108, -v9
	v_lshrrev_b32_e32 v9, 16, v42
	v_fmac_f16_e32 v123, v28, v63
	v_lshrrev_b32_e32 v63, 16, v41
	s_wait_dscnt 0x3
	v_lshrrev_b32_e32 v112, 16, v93
	ds_load_2addr_b32 v[104:105], v47 offset0:96 offset1:151
	v_mul_f16_e64 v129, v9, v110
	v_mul_f16_e32 v9, v9, v66
	v_fmac_f16_e32 v122, v29, v58
	v_fmac_f16_e32 v124, v31, v62
	ds_load_2addr_b32 v[57:58], v50 offset0:150 offset1:205
	v_mul_f16_e32 v62, v63, v89
	v_mul_f16_e64 v130, v63, v109
	v_fmac_f16_e64 v129, v42, v66
	v_fma_f16 v110, v42, v110, -v9
	v_lshrrev_b32_e32 v42, 16, v36
	v_lshrrev_b32_e32 v113, 16, v90
	v_fma_f16 v109, v41, v109, -v62
	v_fmac_f16_e64 v130, v41, v89
	v_lshrrev_b32_e32 v106, 16, v65
	v_mul_f16_e32 v41, v42, v93
	v_mul_f16_e64 v134, v42, v112
	v_lshrrev_b32_e32 v42, 16, v37
	v_lshrrev_b32_e32 v111, 16, v91
	s_wait_dscnt 0x4
	v_lshrrev_b32_e32 v114, 16, v95
	s_wait_dscnt 0x3
	v_lshrrev_b32_e32 v67, 16, v102
	v_lshrrev_b32_e32 v29, 16, v30
	;; [unrolled: 1-line block ×3, first 2 shown]
	v_mul_f16_e32 v99, v42, v113
	v_fma_f16 v97, v36, v112, -v41
	v_fmac_f16_e64 v134, v36, v93
	v_mul_f16_e32 v36, v42, v90
	v_lshrrev_b32_e32 v41, 16, v38
	v_lshrrev_b32_e32 v115, 16, v92
	;; [unrolled: 1-line block ×3, first 2 shown]
	v_fma_f16 v125, v28, v100, -v8
	v_mul_f16_e32 v8, v29, v65
	v_mul_f16_e32 v127, v29, v106
	s_wait_dscnt 0x2
	v_lshrrev_b32_e32 v28, 16, v10
	v_mul_f16_e32 v62, v63, v91
	v_mul_f16_e64 v131, v63, v111
	v_fmac_f16_e32 v99, v37, v90
	v_mul_f16_e64 v136, v41, v114
	v_mul_f16_e32 v41, v41, v95
	v_lshrrev_b32_e32 v42, 16, v39
	v_fma_f16 v100, v37, v113, -v36
	v_mul_f16_e64 v36, v212, v94
	v_mul_f16_e64 v63, v178, v67
	;; [unrolled: 1-line block ×3, first 2 shown]
	v_fma_f16 v106, v30, v106, -v8
	s_wait_dscnt 0x1
	v_lshrrev_b32_e32 v31, 16, v104
	v_fmac_f16_e32 v127, v30, v65
	v_lshrrev_b32_e32 v30, 16, v103
	v_fmac_f16_e64 v128, v40, v64
	ds_load_b32 v64, v139 offset:7480
	s_wait_dscnt 0x1
	v_lshrrev_b32_e32 v40, 16, v57
	v_fma_f16 v111, v43, v111, -v62
	v_fmac_f16_e64 v131, v43, v91
	v_mul_f16_e64 v137, v42, v115
	v_mul_f16_e32 v42, v42, v92
	v_fma_f16 v101, v38, v114, -v41
	v_mul_f16_e64 v91, v212, v61
	v_fma_f16 v61, v32, v61, -v36
	v_fmac_f16_e32 v63, v33, v102
	v_fma_f16 v62, v33, v67, -v37
	v_mul_f16_e64 v33, v176, v104
	v_mul_f16_e64 v41, v190, v28
	;; [unrolled: 1-line block ×3, first 2 shown]
	v_lshrrev_b32_e32 v65, 16, v105
	v_lshrrev_b32_e32 v132, 16, v11
	v_lshrrev_b32_e32 v133, 16, v59
	v_fmac_f16_e64 v137, v39, v92
	v_fma_f16 v113, v39, v115, -v42
	v_fma_f16 v89, v35, v31, -v33
	v_fmac_f16_e32 v41, v24, v10
	v_fma_f16 v33, v24, v28, -v36
	v_mul_f16_e64 v37, v185, v30
	v_mul_f16_e64 v10, v185, v103
	;; [unrolled: 1-line block ×4, first 2 shown]
	v_lshrrev_b32_e32 v29, 16, v96
	v_lshrrev_b32_e32 v135, 16, v58
	v_fmac_f16_e64 v136, v38, v95
	v_mul_f16_e64 v43, v183, v65
	v_fmac_f16_e32 v37, v25, v103
	v_fma_f16 v36, v25, v30, -v10
	v_fmac_f16_e32 v39, v26, v57
	v_fma_f16 v38, v26, v40, -v24
	v_mul_f16_e64 v10, v183, v105
	v_mul_f16_e64 v25, v195, v132
	;; [unrolled: 1-line block ×6, first 2 shown]
	v_fmac_f16_e32 v91, v32, v94
	v_mul_f16_e64 v32, v171, v96
	v_mul_f16_e64 v93, v176, v31
	v_fmac_f16_e32 v43, v27, v105
	v_fma_f16 v42, v27, v65, -v10
	v_fmac_f16_e32 v25, v20, v11
	v_fma_f16 v11, v20, v132, -v26
	;; [unrolled: 2-line block ×3, first 2 shown]
	v_add_f16_e32 v10, v118, v120
	v_mul_f16_e64 v27, v194, v135
	v_mul_f16_e64 v21, v194, v58
	v_add_f16_e32 v28, v4, v116
	s_wait_dscnt 0x0
	v_lshrrev_b32_e32 v112, 16, v64
	v_fmac_f16_e32 v66, v34, v96
	v_fma_f16 v67, v34, v29, -v32
	v_fmac_f16_e32 v93, v35, v104
	v_fma_f16 v10, -0.5, v10, v4
	v_sub_f16_e32 v31, v117, v60
	v_fmac_f16_e32 v27, v22, v58
	v_fma_f16 v26, v22, v135, -v21
	v_add_f16_e32 v22, v28, v118
	v_sub_f16_e32 v28, v116, v118
	v_sub_f16_e32 v32, v121, v120
	v_add_f16_e32 v34, v116, v121
	v_mul_f16_e64 v35, v193, v64
	v_mul_f16_e64 v30, v193, v112
	v_fmamk_f16 v21, v31, 0xbb9c, v10
	v_sub_f16_e32 v29, v119, v98
	v_add_f16_e32 v22, v22, v120
	v_add_f16_e32 v32, v28, v32
	v_fma_f16 v4, -0.5, v34, v4
	v_fma_f16 v28, v23, v112, -v35
	v_fmac_f16_e32 v10, 0x3b9c, v31
	v_sub_f16_e32 v34, v118, v116
	v_sub_f16_e32 v35, v120, v121
	v_add_f16_e32 v40, v56, v117
	v_fmac_f16_e32 v30, v23, v64
	v_fmac_f16_e32 v21, 0xb8b4, v29
	v_add_f16_e32 v23, v22, v121
	v_fmamk_f16 v22, v29, 0x3b9c, v4
	v_fmac_f16_e32 v10, 0x38b4, v29
	v_add_f16_e32 v57, v119, v98
	v_add_f16_e32 v34, v34, v35
	v_fmac_f16_e32 v4, 0xbb9c, v29
	v_add_f16_e32 v35, v40, v119
	v_fmac_f16_e32 v21, 0x34f2, v32
	v_fmac_f16_e32 v22, 0xb8b4, v31
	v_fma_f16 v29, -0.5, v57, v56
	v_sub_f16_e32 v57, v116, v121
	v_fmac_f16_e32 v10, 0x34f2, v32
	v_fmac_f16_e32 v4, 0x38b4, v31
	v_add_f16_e32 v32, v35, v98
	v_add_f16_e32 v35, v117, v60
	v_sub_f16_e32 v58, v117, v119
	v_sub_f16_e32 v59, v60, v98
	v_fmac_f16_e32 v22, 0x34f2, v34
	v_fmamk_f16 v31, v57, 0x3b9c, v29
	v_sub_f16_e32 v40, v118, v120
	v_fmac_f16_e32 v4, 0x34f2, v34
	v_fmac_f16_e32 v56, -0.5, v35
	v_add_f16_e32 v34, v32, v60
	v_add_f16_e32 v58, v58, v59
	v_fmac_f16_e32 v29, 0xbb9c, v57
	v_sub_f16_e32 v35, v119, v117
	v_sub_f16_e32 v59, v98, v60
	v_add_f16_e32 v60, v122, v127
	v_fmac_f16_e32 v31, 0x38b4, v40
	v_fmamk_f16 v32, v40, 0xbb9c, v56
	v_fmac_f16_e32 v29, 0xb8b4, v40
	v_add_f16_e32 v59, v35, v59
	v_add_f16_e32 v64, v5, v123
	v_fma_f16 v35, -0.5, v60, v5
	v_sub_f16_e32 v60, v125, v107
	v_fmac_f16_e32 v56, 0x3b9c, v40
	v_add_f16_e32 v92, v123, v124
	v_lshrrev_b32_e32 v55, 16, v5
	v_fmac_f16_e32 v31, 0x34f2, v58
	v_fmac_f16_e32 v32, 0x38b4, v57
	;; [unrolled: 1-line block ×3, first 2 shown]
	v_add_f16_e32 v58, v64, v122
	v_fmamk_f16 v40, v60, 0xbb9c, v35
	v_sub_f16_e32 v64, v126, v106
	v_sub_f16_e32 v65, v123, v122
	;; [unrolled: 1-line block ×3, first 2 shown]
	v_fmac_f16_e32 v56, 0xb8b4, v57
	v_fmac_f16_e32 v5, -0.5, v92
	v_fmac_f16_e32 v35, 0x3b9c, v60
	v_fmac_f16_e32 v32, 0x34f2, v59
	v_add_f16_e32 v57, v58, v127
	v_fmac_f16_e32 v40, 0xb8b4, v64
	v_add_f16_e32 v65, v65, v90
	v_fmac_f16_e32 v56, 0x34f2, v59
	v_fmamk_f16 v58, v64, 0x3b9c, v5
	v_sub_f16_e32 v59, v122, v123
	v_sub_f16_e32 v90, v127, v124
	v_fmac_f16_e32 v35, 0x38b4, v64
	v_add_f16_e32 v94, v126, v106
	v_fmac_f16_e32 v5, 0xbb9c, v64
	v_fmac_f16_e32 v40, 0x34f2, v65
	v_add_f16_e32 v92, v55, v125
	v_fmac_f16_e32 v58, 0xb8b4, v60
	v_add_f16_e32 v90, v59, v90
	v_fma_f16 v59, -0.5, v94, v55
	v_sub_f16_e32 v94, v123, v124
	v_fmac_f16_e32 v35, 0x34f2, v65
	v_fmac_f16_e32 v5, 0x38b4, v60
	v_add_f16_e32 v65, v125, v107
	v_sub_f16_e32 v95, v125, v126
	v_sub_f16_e32 v96, v107, v106
	v_add_f16_e32 v64, v92, v126
	v_fmac_f16_e32 v58, 0x34f2, v90
	v_fmamk_f16 v60, v94, 0x3b9c, v59
	v_sub_f16_e32 v92, v122, v127
	v_fmac_f16_e32 v5, 0x34f2, v90
	v_fmac_f16_e32 v55, -0.5, v65
	v_add_f16_e32 v95, v95, v96
	v_fmac_f16_e32 v59, 0xbb9c, v94
	v_sub_f16_e32 v90, v126, v125
	v_sub_f16_e32 v96, v106, v107
	v_add_f16_e64 v98, v130, v129
	v_fmac_f16_e32 v60, 0x38b4, v92
	v_fmamk_f16 v65, v92, 0xbb9c, v55
	v_fmac_f16_e32 v59, 0xb8b4, v92
	v_add_f16_e32 v96, v90, v96
	v_add_f16_e64 v102, v2, v128
	v_fma_f16 v90, -0.5, v98, v2
	v_sub_f16_e32 v98, v108, v111
	v_fmac_f16_e32 v55, 0x3b9c, v92
	v_lshrrev_b32_e32 v54, 16, v2
	v_fmac_f16_e32 v60, 0x34f2, v95
	v_fmac_f16_e32 v65, 0x38b4, v94
	;; [unrolled: 1-line block ×3, first 2 shown]
	v_add_f16_e64 v95, v102, v130
	v_fmamk_f16 v92, v98, 0xbb9c, v90
	v_sub_f16_e32 v102, v109, v110
	v_sub_f16_e64 v103, v128, v130
	v_sub_f16_e64 v104, v131, v129
	v_add_f16_e64 v105, v128, v131
	v_fmac_f16_e32 v55, 0xb8b4, v94
	v_fmac_f16_e32 v90, 0x3b9c, v98
	v_add_f16_e32 v64, v64, v106
	v_fmac_f16_e32 v65, 0x34f2, v96
	v_fmac_f16_e32 v92, 0xb8b4, v102
	v_add_f16_e32 v103, v103, v104
	v_fma_f16 v2, -0.5, v105, v2
	v_fmac_f16_e32 v55, 0x34f2, v96
	v_sub_f16_e64 v96, v130, v128
	v_sub_f16_e64 v104, v129, v131
	v_fmac_f16_e32 v90, 0x38b4, v102
	v_add_f16_e32 v105, v54, v108
	v_add_f16_e32 v106, v109, v110
	;; [unrolled: 1-line block ×3, first 2 shown]
	v_add_f16_e64 v94, v95, v129
	v_fmac_f16_e32 v92, 0x34f2, v103
	v_fmamk_f16 v95, v102, 0x3b9c, v2
	v_add_f16_e32 v104, v96, v104
	v_fmac_f16_e32 v2, 0xbb9c, v102
	v_add_f16_e32 v102, v105, v109
	v_fma_f16 v96, -0.5, v106, v54
	v_sub_f16_e64 v105, v128, v131
	v_fmac_f16_e32 v90, 0x34f2, v103
	v_add_f16_e32 v103, v108, v111
	v_sub_f16_e32 v107, v108, v109
	v_sub_f16_e32 v112, v111, v110
	v_fmac_f16_e32 v95, 0xb8b4, v98
	v_fmac_f16_e32 v2, 0x38b4, v98
	v_fmamk_f16 v98, v105, 0x3b9c, v96
	v_sub_f16_e64 v106, v130, v129
	v_fmac_f16_e32 v54, -0.5, v103
	v_add_f16_e32 v103, v107, v112
	v_fmac_f16_e32 v96, 0xbb9c, v105
	v_sub_f16_e32 v107, v109, v108
	v_sub_f16_e32 v108, v110, v111
	ds_load_2addr_b32 v[6:7], v52 offset0:92 offset1:147
	v_fmac_f16_e32 v95, 0x34f2, v104
	v_add_f16_e32 v102, v102, v110
	v_fmac_f16_e32 v2, 0x34f2, v104
	v_fmac_f16_e32 v98, 0x38b4, v106
	v_fmamk_f16 v104, v106, 0xbb9c, v54
	v_add_f16_e64 v109, v99, v136
	v_fmac_f16_e32 v96, 0xb8b4, v106
	v_add_f16_e32 v107, v107, v108
	v_add_f16_e64 v108, v3, v134
	v_fmac_f16_e32 v54, 0x3b9c, v106
	v_add_f16_e64 v114, v134, v137
	v_lshrrev_b32_e32 v53, 16, v3
	v_add_f16_e32 v102, v102, v111
	v_fmac_f16_e32 v98, 0x34f2, v103
	v_fmac_f16_e32 v104, 0x38b4, v105
	v_fma_f16 v109, -0.5, v109, v3
	v_sub_f16_e32 v110, v97, v113
	v_fmac_f16_e32 v96, 0x34f2, v103
	v_add_f16_e32 v103, v108, v99
	v_sub_f16_e32 v108, v100, v101
	v_sub_f16_e64 v111, v134, v99
	v_sub_f16_e64 v112, v137, v136
	v_fmac_f16_e32 v54, 0xb8b4, v105
	v_fmac_f16_e32 v3, -0.5, v114
	v_fmac_f16_e32 v104, 0x34f2, v107
	v_fmamk_f16 v106, v110, 0xbb9c, v109
	v_add_f16_e32 v105, v111, v112
	v_fmac_f16_e32 v54, 0x34f2, v107
	v_fmac_f16_e32 v109, 0x3b9c, v110
	v_fmamk_f16 v107, v108, 0x3b9c, v3
	v_sub_f16_e64 v111, v99, v134
	v_sub_f16_e64 v112, v136, v137
	v_add_f16_e32 v114, v53, v97
	v_add_f16_e32 v115, v100, v101
	v_fmac_f16_e32 v3, 0xbb9c, v108
	v_fmac_f16_e32 v106, 0xb8b4, v108
	;; [unrolled: 1-line block ×4, first 2 shown]
	v_add_f16_e32 v111, v111, v112
	v_add_f16_e32 v108, v114, v100
	v_fma_f16 v112, -0.5, v115, v53
	v_sub_f16_e64 v114, v134, v137
	v_fmac_f16_e32 v3, 0x38b4, v110
	v_add_f16_e32 v110, v97, v113
	v_sub_f16_e32 v115, v97, v100
	v_sub_f16_e32 v97, v100, v97
	;; [unrolled: 1-line block ×3, first 2 shown]
	v_fmac_f16_e32 v106, 0x34f2, v105
	v_fmac_f16_e32 v109, 0x34f2, v105
	v_add_f16_e32 v105, v108, v101
	v_fmamk_f16 v108, v114, 0x3b9c, v112
	v_sub_f16_e64 v99, v99, v136
	v_sub_f16_e32 v116, v113, v101
	v_fmac_f16_e32 v53, -0.5, v110
	v_fmac_f16_e32 v112, 0xbb9c, v114
	v_add_f16_e32 v97, v97, v100
	s_wait_dscnt 0x0
	v_add_f16_e32 v100, v6, v91
	v_fmac_f16_e32 v107, 0x34f2, v111
	v_fmac_f16_e32 v3, 0x34f2, v111
	v_fmac_f16_e32 v108, 0x38b4, v99
	v_add_f16_e32 v110, v115, v116
	v_fmamk_f16 v111, v99, 0xbb9c, v53
	v_add_f16_e32 v101, v63, v66
	v_fmac_f16_e32 v112, 0xb8b4, v99
	v_fmac_f16_e32 v53, 0x3b9c, v99
	v_add_f16_e32 v99, v100, v63
	v_add_f16_e32 v117, v91, v93
	v_lshrrev_b32_e32 v1, 16, v6
	v_add_f16_e32 v105, v105, v113
	v_fmac_f16_e32 v108, 0x34f2, v110
	v_fmac_f16_e32 v111, 0x38b4, v114
	v_fma_f16 v101, -0.5, v101, v6
	v_sub_f16_e32 v113, v61, v89
	v_fmac_f16_e32 v112, 0x34f2, v110
	v_sub_f16_e32 v110, v62, v67
	v_sub_f16_e32 v115, v91, v63
	;; [unrolled: 1-line block ×3, first 2 shown]
	v_fmac_f16_e32 v53, 0xb8b4, v114
	v_add_f16_e32 v99, v99, v66
	v_fma_f16 v6, -0.5, v117, v6
	v_fmac_f16_e32 v111, 0x34f2, v97
	v_fmamk_f16 v100, v113, 0xbb9c, v101
	v_add_f16_e32 v114, v115, v116
	v_fmac_f16_e32 v53, 0x34f2, v97
	v_add_f16_e32 v97, v99, v93
	v_fmac_f16_e32 v101, 0x3b9c, v113
	v_fmamk_f16 v99, v110, 0x3b9c, v6
	v_sub_f16_e32 v115, v63, v91
	v_sub_f16_e32 v116, v66, v93
	v_add_f16_e32 v117, v1, v61
	v_add_f16_e32 v118, v62, v67
	v_fmac_f16_e32 v6, 0xbb9c, v110
	v_fmac_f16_e32 v100, 0xb8b4, v110
	;; [unrolled: 1-line block ×4, first 2 shown]
	v_add_f16_e32 v115, v115, v116
	v_add_f16_e32 v110, v117, v62
	v_fma_f16 v116, -0.5, v118, v1
	v_sub_f16_e32 v91, v91, v93
	v_fmac_f16_e32 v6, 0x38b4, v113
	v_add_f16_e32 v113, v61, v89
	v_sub_f16_e32 v63, v63, v66
	v_sub_f16_e32 v66, v61, v62
	v_sub_f16_e32 v61, v62, v61
	v_sub_f16_e32 v62, v67, v89
	v_fmac_f16_e32 v100, 0x34f2, v114
	v_fmac_f16_e32 v101, 0x34f2, v114
	v_add_f16_e32 v93, v110, v67
	v_fmamk_f16 v110, v91, 0x3b9c, v116
	v_sub_f16_e32 v114, v89, v67
	v_fmac_f16_e32 v1, -0.5, v113
	v_fmac_f16_e32 v116, 0xbb9c, v91
	v_add_f16_e32 v61, v61, v62
	v_add_f16_e32 v62, v7, v41
	v_fmac_f16_e32 v110, 0x38b4, v63
	v_add_f16_e32 v66, v66, v114
	v_fmamk_f16 v113, v63, 0xbb9c, v1
	v_add_f16_e32 v67, v37, v39
	v_fmac_f16_e32 v116, 0xb8b4, v63
	v_fmac_f16_e32 v1, 0x3b9c, v63
	v_add_f16_e32 v62, v62, v37
	v_add_f16_e32 v117, v41, v43
	v_lshrrev_b32_e32 v8, 16, v7
	v_fmac_f16_e32 v99, 0x34f2, v115
	v_fmac_f16_e32 v6, 0x34f2, v115
	v_add_f16_e32 v93, v93, v89
	v_fmac_f16_e32 v110, 0x34f2, v66
	v_fmac_f16_e32 v113, 0x38b4, v91
	v_fma_f16 v67, -0.5, v67, v7
	v_sub_f16_e32 v89, v33, v42
	v_fmac_f16_e32 v116, 0x34f2, v66
	v_sub_f16_e32 v66, v36, v38
	v_sub_f16_e32 v114, v41, v37
	;; [unrolled: 1-line block ×3, first 2 shown]
	v_fmac_f16_e32 v1, 0xb8b4, v91
	v_add_f16_e32 v62, v62, v39
	v_fmac_f16_e32 v7, -0.5, v117
	v_fmac_f16_e32 v113, 0x34f2, v61
	v_fmamk_f16 v63, v89, 0xbb9c, v67
	v_add_f16_e32 v91, v114, v115
	v_fmac_f16_e32 v1, 0x34f2, v61
	v_add_f16_e32 v61, v62, v43
	v_fmac_f16_e32 v67, 0x3b9c, v89
	v_fmamk_f16 v62, v66, 0x3b9c, v7
	v_sub_f16_e32 v114, v37, v41
	v_sub_f16_e32 v115, v39, v43
	v_add_f16_e32 v117, v8, v33
	v_add_f16_e32 v118, v36, v38
	v_fmac_f16_e32 v7, 0xbb9c, v66
	v_fmac_f16_e32 v63, 0xb8b4, v66
	;; [unrolled: 1-line block ×4, first 2 shown]
	v_add_f16_e32 v114, v114, v115
	v_add_f16_e32 v66, v117, v36
	v_fma_f16 v115, -0.5, v118, v8
	v_sub_f16_e32 v41, v41, v43
	v_fmac_f16_e32 v7, 0x38b4, v89
	v_add_f16_e32 v89, v33, v42
	v_fmac_f16_e32 v63, 0x34f2, v91
	v_fmac_f16_e32 v67, 0x34f2, v91
	v_add_f16_e32 v43, v66, v38
	v_fmamk_f16 v66, v41, 0x3b9c, v115
	v_sub_f16_e32 v37, v37, v39
	v_sub_f16_e32 v39, v33, v36
	;; [unrolled: 1-line block ×3, first 2 shown]
	v_fmac_f16_e32 v8, -0.5, v89
	v_fmac_f16_e32 v115, 0xbb9c, v41
	v_sub_f16_e32 v33, v36, v33
	v_sub_f16_e32 v36, v38, v42
	v_add_f16_e32 v38, v24, v27
	v_fmac_f16_e32 v66, 0x38b4, v37
	v_add_f16_e32 v39, v39, v91
	v_fmamk_f16 v89, v37, 0xbb9c, v8
	v_fmac_f16_e32 v115, 0xb8b4, v37
	v_add_f16_e32 v33, v33, v36
	v_fmac_f16_e32 v8, 0x3b9c, v37
	v_add_f16_e32 v36, v0, v25
	v_fma_f16 v37, -0.5, v38, v0
	v_sub_f16_e32 v38, v11, v28
	v_fmac_f16_e32 v62, 0x34f2, v114
	v_fmac_f16_e32 v7, 0x34f2, v114
	v_add_f16_e32 v43, v43, v42
	v_fmac_f16_e32 v66, 0x34f2, v39
	v_fmac_f16_e32 v89, 0x38b4, v41
	;; [unrolled: 1-line block ×4, first 2 shown]
	v_add_f16_e32 v36, v36, v24
	v_fmamk_f16 v39, v38, 0xbb9c, v37
	v_sub_f16_e32 v41, v20, v26
	v_sub_f16_e32 v42, v25, v24
	;; [unrolled: 1-line block ×3, first 2 shown]
	v_fmac_f16_e32 v37, 0x3b9c, v38
	v_add_f16_e32 v114, v25, v30
	v_lshrrev_b32_e32 v9, 16, v0
	v_add_f16_e32 v36, v36, v27
	v_fmac_f16_e32 v39, 0xb8b4, v41
	v_add_f16_e32 v42, v42, v91
	v_fmac_f16_e32 v37, 0x38b4, v41
	v_fmac_f16_e32 v0, -0.5, v114
	v_sub_f16_e32 v91, v24, v25
	v_sub_f16_e32 v114, v27, v30
	v_fmac_f16_e32 v89, 0x34f2, v33
	v_fmac_f16_e32 v8, 0x34f2, v33
	v_add_f16_e32 v33, v36, v30
	v_fmac_f16_e32 v39, 0x34f2, v42
	v_fmac_f16_e32 v37, 0x34f2, v42
	v_fmamk_f16 v36, v41, 0x3b9c, v0
	v_add_f16_e32 v42, v20, v26
	v_fmac_f16_e32 v0, 0xbb9c, v41
	v_sub_f16_e32 v25, v25, v30
	v_add_f16_e32 v30, v91, v114
	v_add_f16_e32 v91, v11, v28
	;; [unrolled: 1-line block ×3, first 2 shown]
	v_fma_f16 v42, -0.5, v42, v9
	v_fmac_f16_e32 v36, 0xb8b4, v38
	v_fmac_f16_e32 v0, 0x38b4, v38
	v_sub_f16_e32 v24, v24, v27
	v_fmac_f16_e32 v9, -0.5, v91
	v_add_f16_e32 v38, v41, v20
	v_fmac_f16_e32 v36, 0x34f2, v30
	v_fmac_f16_e32 v0, 0x34f2, v30
	v_sub_f16_e32 v30, v11, v20
	v_fmamk_f16 v91, v24, 0xbb9c, v9
	v_sub_f16_e32 v11, v20, v11
	v_sub_f16_e32 v20, v26, v28
	v_fmac_f16_e32 v9, 0x3b9c, v24
	v_pack_b32_f16 v21, v21, v31
	v_fmac_f16_e32 v91, 0x38b4, v25
	v_add_f16_e32 v57, v57, v124
	v_add_f16_e32 v11, v11, v20
	v_fmac_f16_e32 v9, 0xb8b4, v25
	v_fmamk_f16 v41, v25, 0x3b9c, v42
	v_fmac_f16_e32 v42, 0xbb9c, v25
	global_wb scope:SCOPE_SE
	v_fmac_f16_e32 v91, 0x34f2, v11
	v_fmac_f16_e32 v9, 0x34f2, v11
	v_pack_b32_f16 v11, v23, v34
	s_barrier_signal -1
	s_barrier_wait -1
	global_inv scope:SCOPE_SE
	v_pack_b32_f16 v4, v4, v56
	ds_store_2addr_b32 v139, v11, v21 offset1:77
	v_pack_b32_f16 v11, v22, v32
	v_pack_b32_f16 v10, v10, v29
	;; [unrolled: 1-line block ×6, first 2 shown]
	v_fmac_f16_e32 v41, 0x38b4, v24
	v_fmac_f16_e32 v42, 0xb8b4, v24
	v_pack_b32_f16 v24, v35, v59
	ds_store_2addr_b32 v139, v11, v4 offset0:154 offset1:231
	ds_store_b32 v139, v10 offset:1232
	ds_store_2addr_b32 v226, v21, v22 offset1:77
	ds_store_2addr_b32 v226, v23, v5 offset0:154 offset1:231
	ds_store_b32 v226, v24 offset:1232
	scratch_load_b32 v25, off, off offset:168 th:TH_LOAD_LU ; 4-byte Folded Reload
	v_add_f16_e64 v103, v103, v136
	v_add_f16_e64 v94, v94, v131
	v_pack_b32_f16 v5, v92, v98
	v_pack_b32_f16 v10, v95, v104
	;; [unrolled: 1-line block ×3, first 2 shown]
	v_add_f16_e64 v103, v103, v137
	v_pack_b32_f16 v4, v94, v102
	v_pack_b32_f16 v11, v90, v96
	;; [unrolled: 1-line block ×8, first 2 shown]
	v_add_f16_e32 v27, v38, v26
	v_sub_f16_e32 v38, v28, v26
	v_pack_b32_f16 v0, v0, v9
	v_lshrrev_b32_e32 v106, 16, v12
	v_lshrrev_b32_e32 v114, 16, v15
	v_add_f16_e32 v20, v27, v28
	v_add_f16_e32 v26, v30, v38
	s_mov_b32 s9, 0x3f4105b7
	s_delay_alu instid0(VALU_DEP_1)
	v_fmac_f16_e32 v41, 0x34f2, v26
	v_fmac_f16_e32 v42, 0x34f2, v26
	s_wait_loadcnt 0x0
	v_add_nc_u32_e32 v23, 0xc00, v25
	ds_store_2addr_b32 v227, v4, v5 offset1:77
	ds_store_2addr_b32 v227, v10, v2 offset0:154 offset1:231
	ds_store_b32 v227, v11 offset:1232
	ds_store_2addr_b32 v23, v21, v22 offset0:2 offset1:79
	ds_store_2addr_b32 v23, v24, v3 offset0:156 offset1:233
	v_pack_b32_f16 v2, v109, v112
	v_pack_b32_f16 v3, v97, v93
	v_pack_b32_f16 v4, v100, v110
	v_pack_b32_f16 v5, v99, v113
	v_pack_b32_f16 v10, v61, v43
	v_pack_b32_f16 v11, v63, v66
	ds_store_b32 v25, v2 offset:4312
	ds_store_2addr_b32 v239, v3, v4 offset1:77
	ds_store_2addr_b32 v239, v5, v1 offset0:154 offset1:231
	ds_store_b32 v239, v6 offset:1232
	ds_store_2addr_b32 v240, v10, v11 offset1:77
	scratch_load_b32 v10, off, off offset:172 th:TH_LOAD_LU ; 4-byte Folded Reload
	v_pack_b32_f16 v1, v62, v89
	v_pack_b32_f16 v2, v7, v8
	;; [unrolled: 1-line block ×7, first 2 shown]
	s_wait_loadcnt 0x0
	v_add_nc_u32_e32 v6, 0x1800, v10
	ds_store_2addr_b32 v240, v1, v2 offset0:154 offset1:231
	ds_store_b32 v240, v3 offset:1232
	ds_store_2addr_b32 v6, v4, v5 offset0:4 offset1:81
	ds_store_2addr_b32 v6, v7, v0 offset0:158 offset1:235
	ds_store_b32 v10, v8 offset:7392
	global_wb scope:SCOPE_SE
	s_wait_dscnt 0x0
	s_barrier_signal -1
	s_barrier_wait -1
	global_inv scope:SCOPE_SE
	ds_load_2addr_b32 v[6:7], v139 offset1:55
	ds_load_2addr_b32 v[0:1], v46 offset0:74 offset1:129
	ds_load_2addr_b32 v[23:24], v51 offset0:2 offset1:57
	;; [unrolled: 1-line block ×15, first 2 shown]
	ds_load_b32 v92, v139 offset:7480
	ds_load_2addr_b32 v[2:3], v52 offset0:92 offset1:147
	s_wait_dscnt 0x11
	v_lshrrev_b32_e32 v10, 16, v6
	s_wait_dscnt 0x10
	v_lshrrev_b32_e32 v43, 16, v1
	;; [unrolled: 2-line block ×6, first 2 shown]
	v_mul_f16_e32 v105, v106, v43
	v_mul_f16_e32 v106, v106, v1
	s_wait_dscnt 0xb
	v_lshrrev_b32_e32 v58, 16, v31
	s_wait_dscnt 0x9
	v_lshrrev_b32_e32 v67, 16, v35
	;; [unrolled: 2-line block ×3, first 2 shown]
	v_fmac_f16_e32 v105, v12, v1
	v_lshrrev_b32_e32 v1, 16, v13
	v_fma_f16 v43, v12, v43, -v106
	v_lshrrev_b32_e32 v12, 16, v14
	v_mul_f16_e64 v120, v219, v60
	v_mul_f16_e64 v127, v220, v67
	v_mul_f16_e32 v106, v1, v53
	v_mul_f16_e32 v1, v1, v23
	;; [unrolled: 1-line block ×4, first 2 shown]
	v_lshrrev_b32_e32 v56, 16, v29
	v_fmac_f16_e32 v120, v72, v30
	v_fma_f16 v112, v13, v53, -v1
	v_mul_f16_e32 v1, v114, v27
	v_fma_f16 v113, v14, v54, -v12
	v_mul_f16_e64 v12, v217, v29
	v_fmac_f16_e32 v127, v75, v35
	v_lshrrev_b32_e32 v57, 16, v24
	v_fma_f16 v116, v15, v55, -v1
	v_mul_f16_e64 v1, v216, v31
	v_lshrrev_b32_e32 v59, 16, v28
	s_wait_dscnt 0x7
	v_lshrrev_b32_e32 v96, 16, v38
	v_fmac_f16_e32 v106, v13, v23
	v_lshrrev_b32_e32 v13, 16, v17
	v_fma_f16 v121, v18, v58, -v1
	v_mul_f16_e64 v1, v219, v30
	v_fma_f16 v117, v16, v56, -v12
	v_lshrrev_b32_e32 v12, 16, v19
	s_wait_dscnt 0x6
	v_lshrrev_b32_e32 v98, 16, v40
	v_mul_f16_e32 v115, v13, v57
	v_fma_f16 v125, v72, v60, -v1
	v_mul_f16_e64 v1, v220, v35
	v_mul_f16_e64 v72, v140, v93
	v_mul_f16_e32 v13, v13, v24
	v_mul_f16_e32 v119, v12, v59
	;; [unrolled: 1-line block ×3, first 2 shown]
	v_fma_f16 v75, v75, v67, -v1
	v_mul_f16_e64 v1, v140, v34
	v_fmac_f16_e32 v72, v69, v34
	v_lshrrev_b32_e32 v61, 16, v33
	v_lshrrev_b32_e32 v64, 16, v32
	s_wait_dscnt 0x5
	v_lshrrev_b32_e32 v101, 16, v42
	v_fma_f16 v69, v69, v93, -v1
	v_mul_f16_e64 v1, v235, v38
	v_fma_f16 v118, v17, v57, -v13
	v_mul_f16_e64 v57, v216, v58
	;; [unrolled: 2-line block ×4, first 2 shown]
	v_lshrrev_b32_e32 v95, 16, v36
	s_wait_dscnt 0x4
	v_lshrrev_b32_e32 v103, 16, v63
	v_mul_f16_e32 v111, v114, v55
	v_fmac_f16_e32 v110, v14, v26
	v_fma_f16 v58, v82, v98, -v1
	v_mul_f16_e64 v1, v152, v42
	v_fmac_f16_e32 v57, v18, v31
	v_mul_f16_e64 v123, v221, v61
	v_mul_f16_e64 v124, v218, v64
	;; [unrolled: 1-line block ×3, first 2 shown]
	v_fma_f16 v126, v73, v61, -v12
	v_mul_f16_e64 v61, v235, v96
	v_fma_f16 v31, v77, v101, -v1
	v_mul_f16_e64 v1, v150, v63
	v_lshrrev_b32_e32 v107, 16, v25
	v_fmac_f16_e32 v111, v15, v27
	v_mul_f16_e64 v114, v217, v56
	v_fmac_f16_e32 v124, v74, v32
	v_fma_f16 v74, v74, v64, -v13
	v_mul_f16_e64 v129, v222, v95
	v_mul_f16_e64 v13, v222, v36
	v_fmac_f16_e32 v61, v80, v38
	v_fma_f16 v38, v79, v103, -v1
	v_add_f16_e32 v1, v106, v110
	s_wait_dscnt 0x3
	v_lshrrev_b32_e32 v100, 16, v65
	s_wait_dscnt 0x2
	v_lshrrev_b32_e32 v108, 16, v90
	v_fmac_f16_e32 v114, v16, v29
	v_fmac_f16_e64 v129, v71, v36
	v_fma_f16 v71, v71, v95, -v13
	v_mul_f16_e64 v56, v145, v98
	v_mul_f16_e64 v13, v242, v65
	;; [unrolled: 1-line block ×4, first 2 shown]
	v_fma_f16 v1, -0.5, v1, v6
	v_sub_f16_e32 v27, v43, v116
	v_add_f16_e32 v29, v105, v111
	v_lshrrev_b32_e32 v91, 16, v37
	v_lshrrev_b32_e32 v97, 16, v41
	s_wait_dscnt 0x1
	v_lshrrev_b32_e32 v109, 16, v92
	v_fmac_f16_e32 v115, v17, v24
	v_fmac_f16_e32 v119, v19, v28
	v_mul_f16_e64 v12, v143, v37
	v_fmac_f16_e32 v56, v82, v40
	v_fma_f16 v28, v76, v100, -v13
	v_mul_f16_e64 v13, v164, v25
	v_fmac_f16_e32 v14, v85, v25
	v_add_f16_e32 v19, v6, v105
	v_fma_f16 v17, v86, v108, -v15
	v_fmamk_f16 v15, v27, 0xbb9c, v1
	v_sub_f16_e32 v25, v112, v113
	v_sub_f16_e32 v23, v105, v106
	;; [unrolled: 1-line block ×3, first 2 shown]
	v_mul_f16_e64 v30, v244, v92
	v_fma_f16 v6, -0.5, v29, v6
	v_fmac_f16_e32 v1, 0x3b9c, v27
	v_add_f16_e32 v40, v112, v113
	v_lshrrev_b32_e32 v94, 16, v39
	v_fma_f16 v67, v68, v91, -v12
	v_mul_f16_e64 v12, v141, v39
	v_mul_f16_e64 v55, v149, v97
	;; [unrolled: 1-line block ×3, first 2 shown]
	v_fmac_f16_e32 v15, 0xb8b4, v25
	v_add_f16_e32 v34, v23, v24
	v_fma_f16 v24, v87, v109, -v30
	v_fmamk_f16 v23, v25, 0x3b9c, v6
	v_sub_f16_e32 v29, v106, v105
	v_sub_f16_e32 v30, v110, v111
	v_fmac_f16_e32 v1, 0x38b4, v25
	v_add_f16_e32 v36, v10, v43
	v_fmac_f16_e32 v6, 0xbb9c, v25
	v_fma_f16 v25, -0.5, v40, v10
	v_sub_f16_e32 v40, v105, v111
	v_fmac_f16_e32 v123, v73, v33
	v_mul_f16_e64 v128, v143, v91
	v_fma_f16 v73, v70, v94, -v12
	v_mul_f16_e64 v12, v149, v41
	v_fmac_f16_e32 v55, v81, v41
	v_fmac_f16_e32 v32, v77, v42
	;; [unrolled: 1-line block ×4, first 2 shown]
	v_add_f16_e32 v29, v29, v30
	v_add_f16_e32 v30, v36, v112
	v_fmac_f16_e32 v1, 0x34f2, v34
	v_fmac_f16_e32 v6, 0x38b4, v27
	v_fmamk_f16 v27, v40, 0x3b9c, v25
	v_add_f16_e32 v34, v43, v116
	v_sub_f16_e32 v36, v106, v110
	v_sub_f16_e32 v41, v43, v112
	;; [unrolled: 1-line block ×3, first 2 shown]
	v_fmac_f16_e32 v25, 0xbb9c, v40
	v_lshrrev_b32_e32 v99, 16, v62
	v_fmac_f16_e64 v128, v68, v37
	v_mul_f16_e64 v91, v141, v94
	v_mul_f16_e64 v37, v242, v100
	v_add_f16_e32 v30, v30, v113
	v_fmac_f16_e32 v10, -0.5, v34
	v_fmac_f16_e32 v27, 0x38b4, v36
	v_add_f16_e32 v41, v41, v42
	v_sub_f16_e32 v34, v112, v43
	v_sub_f16_e32 v42, v113, v116
	v_add_f16_e32 v43, v115, v57
	v_fmac_f16_e32 v25, 0xb8b4, v36
	v_add_f16_e32 v59, v7, v114
	v_lshrrev_b32_e32 v104, 16, v66
	v_fmac_f16_e32 v91, v70, v39
	v_fma_f16 v54, v81, v97, -v12
	v_mul_f16_e64 v64, v147, v99
	v_mul_f16_e64 v12, v147, v62
	v_fmac_f16_e32 v37, v76, v65
	v_mul_f16_e64 v39, v150, v103
	v_fmac_f16_e32 v23, 0x34f2, v29
	v_fmac_f16_e32 v6, 0x34f2, v29
	v_add_f16_e32 v29, v30, v116
	v_fmamk_f16 v30, v36, 0xbb9c, v10
	v_fmac_f16_e32 v27, 0x34f2, v41
	v_add_f16_e32 v42, v34, v42
	v_fma_f16 v34, -0.5, v43, v7
	v_sub_f16_e32 v43, v117, v122
	v_fmac_f16_e32 v25, 0x34f2, v41
	v_fmac_f16_e32 v10, 0x3b9c, v36
	v_add_f16_e32 v41, v59, v115
	v_add_f16_e32 v65, v114, v119
	v_lshrrev_b32_e32 v11, 16, v7
	v_lshrrev_b32_e32 v102, 16, v89
	v_fmac_f16_e32 v64, v83, v62
	v_fma_f16 v60, v83, v99, -v12
	v_mul_f16_e64 v12, v156, v89
	v_fmac_f16_e32 v39, v79, v63
	v_mul_f16_e64 v16, v247, v104
	v_fmac_f16_e32 v30, 0x38b4, v40
	v_fmamk_f16 v36, v43, 0xbb9c, v34
	v_sub_f16_e32 v59, v118, v121
	v_sub_f16_e32 v62, v114, v115
	;; [unrolled: 1-line block ×3, first 2 shown]
	v_fmac_f16_e32 v10, 0xb8b4, v40
	v_add_f16_e32 v40, v41, v57
	v_fmac_f16_e32 v7, -0.5, v65
	v_fmac_f16_e32 v34, 0x3b9c, v43
	v_fma_f16 v33, v78, v102, -v12
	v_mul_f16_e64 v12, v247, v66
	v_fmac_f16_e32 v16, v84, v66
	v_fmac_f16_e32 v30, 0x34f2, v42
	;; [unrolled: 1-line block ×3, first 2 shown]
	v_add_f16_e32 v62, v62, v63
	v_fmac_f16_e32 v10, 0x34f2, v42
	v_add_f16_e32 v41, v40, v119
	v_fmamk_f16 v40, v59, 0x3b9c, v7
	v_sub_f16_e32 v42, v115, v114
	v_sub_f16_e32 v63, v57, v119
	v_fmac_f16_e32 v34, 0x38b4, v59
	v_add_f16_e32 v65, v11, v117
	v_add_f16_e32 v66, v118, v121
	v_fmac_f16_e32 v7, 0xbb9c, v59
	v_fmac_f16_e32 v36, 0x34f2, v62
	;; [unrolled: 1-line block ×3, first 2 shown]
	v_add_f16_e32 v63, v42, v63
	v_add_f16_e32 v59, v65, v118
	v_fma_f16 v42, -0.5, v66, v11
	v_sub_f16_e32 v65, v114, v119
	v_fmac_f16_e32 v34, 0x34f2, v62
	v_fmac_f16_e32 v7, 0x38b4, v43
	v_add_f16_e32 v62, v117, v122
	v_sub_f16_e32 v66, v115, v57
	v_sub_f16_e32 v57, v117, v118
	v_sub_f16_e32 v68, v122, v121
	v_fmac_f16_e32 v40, 0x34f2, v63
	v_fmamk_f16 v43, v65, 0x3b9c, v42
	v_fmac_f16_e32 v7, 0x34f2, v63
	v_fmac_f16_e32 v11, -0.5, v62
	v_add_f16_e32 v63, v57, v68
	v_fmac_f16_e32 v42, 0xbb9c, v65
	v_sub_f16_e32 v62, v118, v117
	v_sub_f16_e32 v68, v121, v122
	v_add_f16_e32 v70, v123, v124
	v_mul_f16_e64 v35, v156, v102
	v_fmac_f16_e32 v43, 0x38b4, v66
	v_fmamk_f16 v57, v66, 0xbb9c, v11
	v_fmac_f16_e32 v42, 0xb8b4, v66
	v_add_f16_e32 v68, v62, v68
	v_add_f16_e32 v76, v4, v120
	v_fma_f16 v62, -0.5, v70, v4
	v_sub_f16_e32 v70, v125, v75
	v_fmac_f16_e32 v11, 0x3b9c, v66
	v_lshrrev_b32_e32 v22, 16, v4
	v_fmac_f16_e32 v35, v78, v89
	v_fmac_f16_e32 v43, 0x34f2, v63
	;; [unrolled: 1-line block ×4, first 2 shown]
	v_add_f16_e32 v66, v76, v123
	v_fmamk_f16 v63, v70, 0xbb9c, v62
	v_sub_f16_e32 v76, v126, v74
	v_sub_f16_e32 v77, v120, v123
	;; [unrolled: 1-line block ×3, first 2 shown]
	v_add_f16_e32 v79, v120, v127
	v_fmac_f16_e32 v11, 0xb8b4, v65
	v_fmac_f16_e32 v62, 0x3b9c, v70
	;; [unrolled: 1-line block ×4, first 2 shown]
	v_add_f16_e32 v77, v77, v78
	v_fma_f16 v4, -0.5, v79, v4
	v_fmac_f16_e32 v11, 0x34f2, v68
	v_sub_f16_e32 v68, v123, v120
	v_sub_f16_e32 v78, v124, v127
	v_fmac_f16_e32 v62, 0x38b4, v76
	v_add_f16_e32 v79, v22, v125
	v_add_f16_e32 v80, v126, v74
	;; [unrolled: 1-line block ×3, first 2 shown]
	v_fmac_f16_e32 v63, 0x34f2, v77
	v_fmamk_f16 v66, v76, 0x3b9c, v4
	v_add_f16_e32 v78, v68, v78
	v_fmac_f16_e32 v4, 0xbb9c, v76
	v_add_f16_e32 v76, v79, v126
	v_fma_f16 v68, -0.5, v80, v22
	v_sub_f16_e32 v79, v120, v127
	v_fmac_f16_e32 v62, 0x34f2, v77
	v_add_f16_e32 v77, v125, v75
	v_sub_f16_e32 v81, v125, v126
	v_sub_f16_e32 v82, v75, v74
	v_fmac_f16_e32 v66, 0xb8b4, v70
	v_fmac_f16_e32 v4, 0x38b4, v70
	v_add_f16_e32 v76, v76, v74
	v_fmamk_f16 v70, v79, 0x3b9c, v68
	v_sub_f16_e32 v80, v123, v124
	v_fmac_f16_e32 v22, -0.5, v77
	v_add_f16_e32 v77, v81, v82
	v_fmac_f16_e32 v68, 0xbb9c, v79
	v_sub_f16_e32 v81, v126, v125
	v_sub_f16_e32 v74, v74, v75
	v_add_f16_e32 v76, v76, v75
	v_fmac_f16_e32 v70, 0x38b4, v80
	v_add_f16_e32 v75, v72, v91
	v_fmac_f16_e32 v68, 0xb8b4, v80
	v_add_f16_e32 v74, v81, v74
	v_add_f16_e64 v81, v5, v128
	v_lshrrev_b32_e32 v21, 16, v5
	v_fma_f16 v13, v85, v107, -v13
	v_fmac_f16_e32 v66, 0x34f2, v78
	v_fmac_f16_e32 v4, 0x34f2, v78
	v_fmamk_f16 v78, v80, 0xbb9c, v22
	v_fmac_f16_e32 v70, 0x34f2, v77
	v_fma_f16 v75, -0.5, v75, v5
	v_sub_f16_e32 v82, v67, v71
	v_fmac_f16_e32 v68, 0x34f2, v77
	v_fmac_f16_e32 v22, 0x3b9c, v80
	v_add_f16_e32 v77, v81, v72
	v_add_f16_e64 v85, v128, v129
	v_fma_f16 v12, v84, v104, -v12
	v_mul_f16_e64 v18, v245, v108
	v_fmac_f16_e32 v78, 0x38b4, v79
	v_fmamk_f16 v80, v82, 0xbb9c, v75
	v_sub_f16_e32 v81, v69, v73
	v_sub_f16_e64 v83, v128, v72
	v_sub_f16_e64 v84, v129, v91
	v_fmac_f16_e32 v22, 0xb8b4, v79
	v_add_f16_e32 v77, v77, v91
	v_fmac_f16_e32 v5, -0.5, v85
	v_fmac_f16_e32 v75, 0x3b9c, v82
	v_add_f16_e32 v85, v21, v67
	v_fmac_f16_e32 v18, v86, v90
	v_fmac_f16_e32 v78, 0x34f2, v74
	;; [unrolled: 1-line block ×3, first 2 shown]
	v_add_f16_e32 v79, v83, v84
	v_fmac_f16_e32 v22, 0x34f2, v74
	v_add_f16_e64 v74, v77, v129
	v_fmamk_f16 v77, v81, 0x3b9c, v5
	v_sub_f16_e64 v83, v72, v128
	v_sub_f16_e64 v84, v91, v129
	v_fmac_f16_e32 v75, 0x38b4, v81
	v_add_f16_e32 v86, v69, v73
	v_fmac_f16_e32 v5, 0xbb9c, v81
	v_add_f16_e32 v81, v85, v69
	v_mul_f16_e64 v26, v244, v109
	v_fmac_f16_e32 v80, 0x34f2, v79
	v_fmac_f16_e32 v77, 0xb8b4, v82
	v_add_f16_e32 v83, v83, v84
	v_fma_f16 v84, -0.5, v86, v21
	v_sub_f16_e64 v85, v128, v129
	v_fmac_f16_e32 v75, 0x34f2, v79
	v_fmac_f16_e32 v5, 0x38b4, v82
	v_add_f16_e32 v79, v81, v73
	v_add_f16_e32 v82, v67, v71
	v_sub_f16_e32 v86, v67, v69
	v_sub_f16_e32 v67, v69, v67
	v_sub_f16_e32 v69, v73, v71
	v_fmac_f16_e32 v26, v87, v92
	v_fmamk_f16 v81, v85, 0x3b9c, v84
	v_sub_f16_e32 v72, v72, v91
	v_sub_f16_e32 v87, v71, v73
	v_fmac_f16_e32 v21, -0.5, v82
	v_add_f16_e32 v79, v79, v71
	v_fmac_f16_e32 v84, 0xbb9c, v85
	v_add_f16_e32 v71, v55, v56
	v_add_f16_e32 v67, v67, v69
	s_wait_dscnt 0x0
	v_add_f16_e32 v69, v2, v61
	v_lshrrev_b32_e32 v20, 16, v2
	v_fmac_f16_e32 v77, 0x34f2, v83
	v_fmac_f16_e32 v5, 0x34f2, v83
	;; [unrolled: 1-line block ×3, first 2 shown]
	v_add_f16_e32 v82, v86, v87
	v_fmamk_f16 v83, v72, 0xbb9c, v21
	v_fmac_f16_e32 v84, 0xb8b4, v72
	v_fma_f16 v71, -0.5, v71, v2
	v_sub_f16_e32 v73, v53, v60
	v_fmac_f16_e32 v21, 0x3b9c, v72
	v_add_f16_e32 v69, v69, v55
	v_add_f16_e32 v89, v61, v64
	v_fmac_f16_e32 v81, 0x34f2, v82
	v_fmac_f16_e32 v83, 0x38b4, v85
	;; [unrolled: 1-line block ×3, first 2 shown]
	v_fmamk_f16 v72, v73, 0xbb9c, v71
	v_sub_f16_e32 v82, v54, v58
	v_sub_f16_e32 v86, v61, v55
	;; [unrolled: 1-line block ×3, first 2 shown]
	v_fmac_f16_e32 v21, 0xb8b4, v85
	v_add_f16_e32 v69, v69, v56
	v_fma_f16 v2, -0.5, v89, v2
	v_fmac_f16_e32 v71, 0x3b9c, v73
	v_add_f16_e32 v89, v20, v53
	v_fmac_f16_e32 v83, 0x34f2, v67
	v_fmac_f16_e32 v72, 0xb8b4, v82
	v_add_f16_e32 v85, v86, v87
	v_fmac_f16_e32 v21, 0x34f2, v67
	v_add_f16_e32 v67, v69, v64
	v_fmamk_f16 v69, v82, 0x3b9c, v2
	v_sub_f16_e32 v86, v55, v61
	v_sub_f16_e32 v87, v56, v64
	v_fmac_f16_e32 v71, 0x38b4, v82
	v_add_f16_e32 v90, v54, v58
	v_fmac_f16_e32 v2, 0xbb9c, v82
	v_add_f16_e32 v82, v89, v54
	v_add_f16_e32 v86, v86, v87
	v_sub_f16_e32 v61, v61, v64
	v_fma_f16 v87, -0.5, v90, v20
	v_sub_f16_e32 v55, v55, v56
	v_add_f16_e32 v64, v82, v58
	v_add_f16_e32 v82, v53, v60
	v_sub_f16_e32 v56, v53, v54
	v_sub_f16_e32 v53, v54, v53
	v_sub_f16_e32 v54, v58, v60
	v_fmac_f16_e32 v72, 0x34f2, v85
	v_fmac_f16_e32 v69, 0xb8b4, v73
	;; [unrolled: 1-line block ×4, first 2 shown]
	v_fmamk_f16 v73, v61, 0x3b9c, v87
	v_sub_f16_e32 v85, v60, v58
	v_fmac_f16_e32 v20, -0.5, v82
	v_fmac_f16_e32 v87, 0xbb9c, v61
	v_add_f16_e32 v53, v53, v54
	v_add_f16_e32 v54, v3, v37
	v_fmac_f16_e32 v73, 0x38b4, v55
	v_add_f16_e32 v56, v56, v85
	v_fmamk_f16 v82, v55, 0xbb9c, v20
	v_add_f16_e32 v58, v32, v35
	v_fmac_f16_e32 v87, 0xb8b4, v55
	v_fmac_f16_e32 v20, 0x3b9c, v55
	v_add_f16_e32 v54, v54, v32
	v_add_f16_e32 v89, v37, v39
	v_lshrrev_b32_e32 v9, 16, v3
	v_fmac_f16_e32 v69, 0x34f2, v86
	v_fmac_f16_e32 v2, 0x34f2, v86
	v_add_f16_e32 v64, v64, v60
	v_fmac_f16_e32 v73, 0x34f2, v56
	v_fmac_f16_e32 v82, 0x38b4, v61
	v_fma_f16 v58, -0.5, v58, v3
	v_sub_f16_e32 v60, v28, v38
	v_fmac_f16_e32 v87, 0x34f2, v56
	v_sub_f16_e32 v56, v31, v33
	v_sub_f16_e32 v85, v37, v32
	;; [unrolled: 1-line block ×3, first 2 shown]
	v_fmac_f16_e32 v20, 0xb8b4, v61
	v_add_f16_e32 v54, v54, v35
	v_fmac_f16_e32 v3, -0.5, v89
	v_fmac_f16_e32 v82, 0x34f2, v53
	v_fmamk_f16 v55, v60, 0xbb9c, v58
	v_add_f16_e32 v61, v85, v86
	v_fmac_f16_e32 v20, 0x34f2, v53
	v_add_f16_e32 v53, v54, v39
	v_fmac_f16_e32 v58, 0x3b9c, v60
	v_fmamk_f16 v54, v56, 0x3b9c, v3
	v_sub_f16_e32 v85, v32, v37
	v_sub_f16_e32 v86, v35, v39
	v_add_f16_e32 v89, v9, v28
	v_add_f16_e32 v90, v31, v33
	v_fmac_f16_e32 v3, 0xbb9c, v56
	v_fmac_f16_e32 v55, 0xb8b4, v56
	;; [unrolled: 1-line block ×4, first 2 shown]
	v_add_f16_e32 v85, v85, v86
	v_add_f16_e32 v56, v89, v31
	v_fma_f16 v86, -0.5, v90, v9
	v_sub_f16_e32 v37, v37, v39
	v_fmac_f16_e32 v3, 0x38b4, v60
	v_add_f16_e32 v60, v28, v38
	v_fmac_f16_e32 v55, 0x34f2, v61
	v_fmac_f16_e32 v58, 0x34f2, v61
	v_add_f16_e32 v39, v56, v33
	v_fmamk_f16 v56, v37, 0x3b9c, v86
	v_sub_f16_e32 v32, v32, v35
	v_sub_f16_e32 v35, v28, v31
	v_sub_f16_e32 v61, v38, v33
	v_fmac_f16_e32 v9, -0.5, v60
	v_fmac_f16_e32 v86, 0xbb9c, v37
	v_sub_f16_e32 v28, v31, v28
	v_sub_f16_e32 v31, v33, v38
	v_add_f16_e32 v33, v14, v18
	v_fmac_f16_e32 v56, 0x38b4, v32
	v_add_f16_e32 v35, v35, v61
	v_fmamk_f16 v60, v32, 0xbb9c, v9
	v_fmac_f16_e32 v86, 0xb8b4, v32
	v_add_f16_e32 v28, v28, v31
	v_fmac_f16_e32 v9, 0x3b9c, v32
	v_add_f16_e32 v31, v0, v16
	v_fma_f16 v32, -0.5, v33, v0
	v_sub_f16_e32 v33, v12, v24
	v_fmac_f16_e32 v54, 0x34f2, v85
	v_fmac_f16_e32 v3, 0x34f2, v85
	v_add_f16_e32 v39, v39, v38
	v_fmac_f16_e32 v56, 0x34f2, v35
	v_fmac_f16_e32 v60, 0x38b4, v37
	;; [unrolled: 1-line block ×4, first 2 shown]
	v_add_f16_e32 v31, v31, v14
	v_fmamk_f16 v35, v33, 0xbb9c, v32
	v_sub_f16_e32 v37, v13, v17
	v_sub_f16_e32 v38, v16, v14
	;; [unrolled: 1-line block ×3, first 2 shown]
	v_fmac_f16_e32 v32, 0x3b9c, v33
	v_add_f16_e32 v85, v16, v26
	v_lshrrev_b32_e32 v8, 16, v0
	v_add_f16_e32 v31, v31, v18
	v_fmac_f16_e32 v35, 0xb8b4, v37
	v_add_f16_e32 v38, v38, v61
	v_fmac_f16_e32 v32, 0x38b4, v37
	v_fmac_f16_e32 v0, -0.5, v85
	v_sub_f16_e32 v61, v14, v16
	v_sub_f16_e32 v85, v18, v26
	v_fmac_f16_e32 v60, 0x34f2, v28
	v_fmac_f16_e32 v9, 0x34f2, v28
	v_add_f16_e32 v28, v31, v26
	v_fmac_f16_e32 v35, 0x34f2, v38
	v_fmac_f16_e32 v32, 0x34f2, v38
	v_fmamk_f16 v31, v37, 0x3b9c, v0
	v_add_f16_e32 v38, v13, v17
	v_fmac_f16_e32 v0, 0xbb9c, v37
	v_sub_f16_e32 v16, v16, v26
	v_add_f16_e32 v26, v61, v85
	v_add_f16_e32 v61, v12, v24
	;; [unrolled: 1-line block ×4, first 2 shown]
	v_fma_f16 v38, -0.5, v38, v8
	v_fmac_f16_e32 v31, 0xb8b4, v33
	v_fmac_f16_e32 v0, 0x38b4, v33
	v_sub_f16_e32 v14, v14, v18
	v_fmac_f16_e32 v8, -0.5, v61
	v_add_f16_e32 v19, v19, v110
	v_add_f16_e32 v59, v59, v121
	;; [unrolled: 1-line block ×3, first 2 shown]
	v_fmac_f16_e32 v31, 0x34f2, v26
	v_fmac_f16_e32 v0, 0x34f2, v26
	v_sub_f16_e32 v26, v12, v13
	v_fmamk_f16 v61, v14, 0xbb9c, v8
	v_sub_f16_e32 v12, v13, v12
	v_sub_f16_e32 v13, v17, v24
	v_fmac_f16_e32 v8, 0x3b9c, v14
	v_fmamk_f16 v37, v16, 0x3b9c, v38
	v_fmac_f16_e32 v38, 0xbb9c, v16
	v_add_f16_e32 v19, v19, v111
	v_add_f16_e32 v59, v59, v122
	v_fmac_f16_e32 v61, 0x38b4, v16
	v_add_f16_e32 v12, v12, v13
	v_fmac_f16_e32 v8, 0xb8b4, v16
	v_fmac_f16_e32 v37, 0x38b4, v14
	;; [unrolled: 1-line block ×3, first 2 shown]
	v_pack_b32_f16 v14, v15, v27
	v_pack_b32_f16 v15, v23, v30
	;; [unrolled: 1-line block ×4, first 2 shown]
	v_add_f16_e32 v65, v65, v127
	v_fmac_f16_e32 v61, 0x34f2, v12
	v_fmac_f16_e32 v8, 0x34f2, v12
	v_pack_b32_f16 v12, v19, v29
	v_pack_b32_f16 v10, v41, v59
	ds_store_b32 v139, v14 offset:1540
	ds_store_b32 v139, v15 offset:3080
	;; [unrolled: 1-line block ×4, first 2 shown]
	ds_store_2addr_b32 v139, v12, v10 offset1:55
	v_pack_b32_f16 v1, v36, v43
	v_pack_b32_f16 v12, v63, v70
	;; [unrolled: 1-line block ×4, first 2 shown]
	v_add_f16_e32 v18, v33, v17
	v_sub_f16_e32 v33, v24, v17
	v_pack_b32_f16 v7, v7, v11
	v_pack_b32_f16 v4, v4, v22
	;; [unrolled: 1-line block ×6, first 2 shown]
	ds_store_2addr_b32 v46, v1, v12 offset0:184 offset1:239
	ds_store_2addr_b32 v51, v6, v14 offset0:57 offset1:112
	;; [unrolled: 1-line block ×5, first 2 shown]
	v_pack_b32_f16 v1, v77, v83
	v_pack_b32_f16 v4, v5, v21
	v_add_f16_e32 v17, v26, v33
	v_pack_b32_f16 v5, v75, v84
	v_pack_b32_f16 v6, v80, v81
	;; [unrolled: 1-line block ×4, first 2 shown]
	ds_store_b32 v139, v1 offset:3740
	ds_store_b32 v139, v4 offset:5280
	;; [unrolled: 1-line block ×3, first 2 shown]
	v_pack_b32_f16 v4, v71, v87
	v_add_f16_e32 v13, v18, v24
	v_fmac_f16_e32 v37, 0x34f2, v17
	v_pack_b32_f16 v1, v67, v64
	ds_store_2addr_b32 v49, v6, v7 offset0:38 offset1:93
	v_pack_b32_f16 v5, v69, v82
	v_pack_b32_f16 v6, v53, v39
	;; [unrolled: 1-line block ×3, first 2 shown]
	v_fmac_f16_e32 v38, 0x34f2, v17
	ds_store_b32 v139, v2 offset:5500
	ds_store_b32 v139, v4 offset:7040
	v_pack_b32_f16 v2, v58, v86
	v_pack_b32_f16 v3, v3, v9
	;; [unrolled: 1-line block ×3, first 2 shown]
	ds_store_2addr_b32 v52, v1, v6 offset0:92 offset1:147
	v_pack_b32_f16 v1, v55, v56
	ds_store_2addr_b32 v45, v5, v7 offset0:94 offset1:149
	v_pack_b32_f16 v5, v35, v37
	v_pack_b32_f16 v6, v31, v61
	;; [unrolled: 1-line block ×4, first 2 shown]
	ds_store_b32 v139, v2 offset:7260
	ds_store_b32 v139, v3 offset:5720
	;; [unrolled: 1-line block ×3, first 2 shown]
	ds_store_2addr_b32 v49, v1, v5 offset0:148 offset1:203
	ds_store_b32 v139, v6 offset:4400
	ds_store_b32 v139, v0 offset:5940
	;; [unrolled: 1-line block ×3, first 2 shown]
	global_wb scope:SCOPE_SE
	s_wait_dscnt 0x0
	s_barrier_signal -1
	s_barrier_wait -1
	global_inv scope:SCOPE_SE
	ds_load_2addr_b32 v[9:10], v139 offset1:55
	v_lshrrev_b32_e32 v3, 16, v206
	ds_load_2addr_b32 v[4:5], v52 offset0:92 offset1:147
	v_lshrrev_b32_e32 v13, 16, v204
	v_lshrrev_b32_e32 v24, 16, v203
	;; [unrolled: 1-line block ×4, first 2 shown]
	s_wait_dscnt 0x1
	v_lshrrev_b32_e32 v2, 16, v9
	s_wait_dscnt 0x0
	v_lshrrev_b32_e32 v8, 16, v5
	s_delay_alu instid0(VALU_DEP_2) | instskip(SKIP_1) | instid1(VALU_DEP_3)
	v_mul_f16_e32 v0, v3, v2
	v_mul_f16_e32 v3, v3, v9
	;; [unrolled: 1-line block ×3, first 2 shown]
	s_delay_alu instid0(VALU_DEP_3) | instskip(NEXT) | instid1(VALU_DEP_3)
	v_fmac_f16_e64 v0, v206, v9
	v_fma_f16 v2, v206, v2, -v3
	s_delay_alu instid0(VALU_DEP_3) | instskip(SKIP_1) | instid1(VALU_DEP_4)
	v_fmac_f16_e64 v6, v204, v5
	v_mul_f16_e32 v5, v13, v5
	v_cvt_f32_f16_e32 v0, v0
	s_delay_alu instid0(VALU_DEP_4) | instskip(NEXT) | instid1(VALU_DEP_4)
	v_cvt_f32_f16_e32 v2, v2
	v_cvt_f32_f16_e32 v6, v6
	s_delay_alu instid0(VALU_DEP_4) | instskip(NEXT) | instid1(VALU_DEP_4)
	v_fma_f16 v5, v204, v8, -v5
	v_cvt_f64_f32_e32 v[0:1], v0
	s_delay_alu instid0(VALU_DEP_4) | instskip(NEXT) | instid1(VALU_DEP_3)
	v_cvt_f64_f32_e32 v[2:3], v2
	v_cvt_f32_f16_e32 v5, v5
	s_wait_alu 0xfffe
	s_delay_alu instid0(VALU_DEP_3) | instskip(NEXT) | instid1(VALU_DEP_3)
	v_mul_f64_e32 v[0:1], s[8:9], v[0:1]
	v_mul_f64_e32 v[2:3], s[8:9], v[2:3]
	s_delay_alu instid0(VALU_DEP_2) | instskip(SKIP_2) | instid1(VALU_DEP_4)
	v_and_or_b32 v0, 0x1ff, v1, v0
	v_lshrrev_b32_e32 v7, 8, v1
	v_bfe_u32 v9, v1, 20, 11
	v_and_or_b32 v2, 0x1ff, v3, v2
	v_bfe_u32 v15, v3, 20, 11
	v_cmp_ne_u32_e32 vcc_lo, 0, v0
	v_lshrrev_b32_e32 v13, 8, v3
	v_add_nc_u32_e32 v18, 0xfffffc10, v9
	s_delay_alu instid0(VALU_DEP_4) | instskip(SKIP_4) | instid1(VALU_DEP_3)
	v_sub_nc_u32_e32 v8, 0x3f1, v15
	s_wait_alu 0xfffd
	v_cndmask_b32_e64 v0, 0, 1, vcc_lo
	v_cmp_ne_u32_e32 vcc_lo, 0, v2
	v_add_nc_u32_e32 v20, 0xfffffc10, v15
	v_and_or_b32 v17, 0xffe, v7, v0
	v_sub_nc_u32_e32 v0, 0x3f1, v9
	v_cvt_f64_f32_e32 v[6:7], v6
	s_wait_alu 0xfffd
	v_cndmask_b32_e64 v2, 0, 1, vcc_lo
	v_cmp_gt_i32_e64 s1, 1, v20
	v_or_b32_e32 v11, 0x1000, v17
	v_med3_i32 v0, v0, 0, 13
	s_delay_alu instid0(VALU_DEP_4) | instskip(SKIP_2) | instid1(VALU_DEP_4)
	v_and_or_b32 v2, 0xffe, v13, v2
	v_med3_i32 v13, v8, 0, 13
	v_cvt_f64_f32_e32 v[8:9], v5
	v_lshrrev_b32_e32 v12, v0, v11
	v_lshl_or_b32 v5, v18, 12, v17
	v_or_b32_e32 v16, 0x1000, v2
	s_delay_alu instid0(VALU_DEP_3) | instskip(NEXT) | instid1(VALU_DEP_2)
	v_lshlrev_b32_e32 v0, v0, v12
	v_lshrrev_b32_e32 v19, v13, v16
	s_delay_alu instid0(VALU_DEP_2) | instskip(SKIP_3) | instid1(VALU_DEP_2)
	v_cmp_ne_u32_e32 vcc_lo, v0, v11
	s_wait_alu 0xfffd
	v_cndmask_b32_e64 v0, 0, 1, vcc_lo
	v_cmp_gt_i32_e32 vcc_lo, 1, v18
	v_or_b32_e32 v0, v12, v0
	v_mad_co_u64_u32 v[11:12], null, s6, v88, 0
	s_wait_alu 0xfffd
	s_delay_alu instid0(VALU_DEP_2) | instskip(SKIP_2) | instid1(VALU_DEP_3)
	v_cndmask_b32_e32 v5, v5, v0, vcc_lo
	v_lshlrev_b32_e32 v0, v13, v19
	v_mul_f64_e32 v[13:14], s[8:9], v[6:7]
	v_and_b32_e32 v6, 7, v5
	s_delay_alu instid0(VALU_DEP_3) | instskip(SKIP_1) | instid1(VALU_DEP_3)
	v_cmp_ne_u32_e32 vcc_lo, v0, v16
	v_mov_b32_e32 v0, v12
	v_cmp_eq_u32_e64 s0, 3, v6
	s_wait_alu 0xfffd
	v_cndmask_b32_e64 v7, 0, 1, vcc_lo
	s_delay_alu instid0(VALU_DEP_3) | instskip(SKIP_2) | instid1(VALU_DEP_4)
	v_mad_co_u64_u32 v[15:16], null, s7, v88, v[0:1]
	v_cmp_lt_i32_e32 vcc_lo, 5, v6
	v_lshrrev_b32_e32 v0, 2, v5
	v_or_b32_e32 v12, v19, v7
	v_lshl_or_b32 v19, v20, 12, v2
	v_mul_f64_e32 v[8:9], s[8:9], v[8:9]
	s_or_b32 vcc_lo, s0, vcc_lo
	s_movk_i32 s6, 0xe714
	s_wait_alu 0xfffe
	v_add_co_ci_u32_e32 v0, vcc_lo, 0, v0, vcc_lo
	v_cndmask_b32_e64 v5, v19, v12, s1
	v_mov_b32_e32 v12, v15
	ds_load_2addr_b32 v[6:7], v49 offset0:38 offset1:93
	v_cmp_ne_u32_e32 vcc_lo, 0, v17
	v_cmp_eq_u32_e64 s1, 0x40f, v18
	v_lshrrev_b32_e32 v19, 16, v1
	v_lshlrev_b64_e32 v[11:12], 2, v[11:12]
	s_mov_b32 s7, -1
	s_wait_alu 0xfffd
	v_cndmask_b32_e64 v16, 0, 1, vcc_lo
	v_cmp_gt_i32_e32 vcc_lo, 31, v18
	v_and_b32_e32 v15, 7, v5
	v_lshrrev_b32_e32 v5, 2, v5
	s_delay_alu instid0(VALU_DEP_4)
	v_lshl_or_b32 v16, v16, 9, 0x7c00
	s_wait_alu 0xfffd
	v_cndmask_b32_e32 v0, 0x7c00, v0, vcc_lo
	v_cmp_lt_i32_e32 vcc_lo, 5, v15
	v_cmp_eq_u32_e64 s0, 3, v15
	s_wait_alu 0xf1ff
	s_delay_alu instid0(VALU_DEP_3) | instskip(SKIP_1) | instid1(VALU_DEP_3)
	v_cndmask_b32_e64 v18, v0, v16, s1
	v_and_or_b32 v13, 0x1ff, v14, v13
	s_or_b32 vcc_lo, s0, vcc_lo
	s_wait_dscnt 0x0
	v_lshrrev_b32_e32 v17, 16, v6
	s_wait_alu 0xfffe
	v_add_co_ci_u32_e32 v0, vcc_lo, 0, v5, vcc_lo
	v_cmp_gt_i32_e32 vcc_lo, 31, v20
	v_lshrrev_b32_e32 v1, 8, v14
	v_mul_f16_e32 v5, v24, v17
	v_mad_co_u64_u32 v[15:16], null, s4, v198, 0
	s_wait_alu 0xfffd
	v_cndmask_b32_e32 v21, 0x7c00, v0, vcc_lo
	v_cmp_ne_u32_e32 vcc_lo, 0, v13
	v_fmac_f16_e64 v5, v203, v6
	v_bfe_u32 v13, v14, 20, 11
	v_and_or_b32 v18, 0x8000, v19, v18
	v_and_or_b32 v8, 0x1ff, v9, v8
	s_wait_alu 0xfffd
	v_cndmask_b32_e64 v0, 0, 1, vcc_lo
	v_cmp_ne_u32_e32 vcc_lo, 0, v2
	v_cvt_f32_f16_e32 v5, v5
	v_sub_nc_u32_e32 v23, 0x3f1, v13
	v_mul_f16_e32 v6, v24, v6
	v_and_or_b32 v22, 0xffe, v1, v0
	s_wait_alu 0xfffd
	v_cndmask_b32_e64 v2, 0, 1, vcc_lo
	v_cvt_f64_f32_e32 v[0:1], v5
	v_cmp_eq_u32_e32 vcc_lo, 0x40f, v20
	v_med3_i32 v19, v23, 0, 13
	v_or_b32_e32 v5, 0x1000, v22
	v_lshl_or_b32 v2, v2, 9, 0x7c00
	v_fma_f16 v6, v203, v17, -v6
	v_lshrrev_b32_e32 v17, 8, v9
	v_add_nc_u32_e32 v13, 0xfffffc10, v13
	v_and_b32_e32 v18, 0xffff, v18
	s_wait_alu 0xfffd
	v_cndmask_b32_e32 v20, v21, v2, vcc_lo
	v_mov_b32_e32 v2, v16
	v_lshrrev_b32_e32 v16, v19, v5
	v_cmp_ne_u32_e32 vcc_lo, 0, v8
	v_lshrrev_b32_e32 v21, 16, v3
	v_cvt_f32_f16_e32 v6, v6
	v_mad_co_u64_u32 v[2:3], null, s5, v198, v[2:3]
	v_lshlrev_b32_e32 v3, v19, v16
	s_wait_alu 0xfffd
	v_cndmask_b32_e64 v8, 0, 1, vcc_lo
	v_bfe_u32 v19, v9, 20, 11
	v_and_or_b32 v20, 0x8000, v21, v20
	v_lshrrev_b32_e32 v9, 16, v9
	v_cmp_ne_u32_e32 vcc_lo, v3, v5
	v_and_or_b32 v8, 0xffe, v17, v8
	v_sub_nc_u32_e32 v17, 0x3f1, v19
	v_cvt_f64_f32_e32 v[5:6], v6
	v_lshl_or_b32 v26, v20, 16, v18
	s_wait_alu 0xfffd
	v_cndmask_b32_e64 v3, 0, 1, vcc_lo
	v_or_b32_e32 v23, 0x1000, v8
	v_med3_i32 v17, v17, 0, 13
	v_cmp_gt_i32_e32 vcc_lo, 1, v13
	v_add_nc_u32_e32 v18, 0xfffffc10, v19
	v_or_b32_e32 v3, v16, v3
	v_lshl_or_b32 v16, v13, 12, v22
	v_lshrrev_b32_e32 v24, v17, v23
	v_lshrrev_b32_e32 v14, 16, v14
	s_wait_alu 0xfffd
	s_delay_alu instid0(VALU_DEP_3) | instskip(NEXT) | instid1(VALU_DEP_3)
	v_cndmask_b32_e32 v21, v16, v3, vcc_lo
	v_dual_mov_b32 v16, v2 :: v_dual_lshlrev_b32 v17, v17, v24
	ds_load_2addr_b32 v[2:3], v51 offset0:2 offset1:57
	v_mul_f64_e32 v[0:1], s[8:9], v[0:1]
	v_and_b32_e32 v25, 7, v21
	v_cmp_ne_u32_e64 s1, v17, v23
	s_delay_alu instid0(VALU_DEP_2) | instskip(SKIP_2) | instid1(VALU_DEP_3)
	v_cmp_lt_i32_e32 vcc_lo, 5, v25
	v_cmp_eq_u32_e64 s0, 3, v25
	s_wait_alu 0xf1ff
	v_cndmask_b32_e64 v17, 0, 1, s1
	v_add_co_u32 v19, s1, s2, v11
	v_lshrrev_b32_e32 v11, 2, v21
	s_or_b32 vcc_lo, s0, vcc_lo
	v_add_co_ci_u32_e64 v20, s1, s3, v12, s1
	v_or_b32_e32 v12, v24, v17
	s_wait_alu 0xfffe
	v_add_co_ci_u32_e32 v11, vcc_lo, 0, v11, vcc_lo
	v_cmp_ne_u32_e32 vcc_lo, 0, v22
	v_lshl_or_b32 v17, v18, 12, v8
	s_wait_dscnt 0x0
	v_lshrrev_b32_e32 v22, 16, v3
	v_lshrrev_b32_e32 v25, 16, v196
	v_mul_f64_e32 v[5:6], s[8:9], v[5:6]
	s_wait_alu 0xfffd
	v_cndmask_b32_e64 v21, 0, 1, vcc_lo
	v_cmp_gt_i32_e32 vcc_lo, 1, v18
	s_mul_u64 s[2:3], s[4:5], 0x44c
	v_mul_f16_e32 v24, v25, v22
	s_mul_u64 s[4:5], s[4:5], s[6:7]
	v_lshl_or_b32 v21, v21, 9, 0x7c00
	s_wait_alu 0xfffd
	v_cndmask_b32_e32 v17, v17, v12, vcc_lo
	v_cmp_gt_i32_e32 vcc_lo, 31, v13
	v_fmac_f16_e64 v24, v196, v3
	v_mul_f16_e32 v3, v25, v3
	s_wait_alu 0xfffd
	v_cndmask_b32_e32 v23, 0x7c00, v11, vcc_lo
	v_lshlrev_b64_e32 v[11:12], 2, v[15:16]
	v_and_b32_e32 v15, 7, v17
	v_cmp_eq_u32_e32 vcc_lo, 0x40f, v13
	v_and_or_b32 v0, 0x1ff, v1, v0
	v_lshrrev_b32_e32 v17, 2, v17
	v_fma_f16 v3, v196, v22, -v3
	v_cmp_eq_u32_e64 s0, 3, v15
	s_wait_alu 0xfffd
	v_cndmask_b32_e32 v13, v23, v21, vcc_lo
	v_cmp_lt_i32_e32 vcc_lo, 5, v15
	v_cvt_f32_f16_e32 v15, v24
	v_cmp_ne_u32_e64 s1, 0, v0
	v_lshrrev_b32_e32 v21, 8, v1
	v_bfe_u32 v23, v1, 20, 11
	s_or_b32 vcc_lo, s0, vcc_lo
	v_cvt_f64_f32_e32 v[15:16], v15
	s_wait_alu 0xfffe
	v_add_co_ci_u32_e32 v17, vcc_lo, 0, v17, vcc_lo
	v_cndmask_b32_e64 v0, 0, 1, s1
	v_cmp_ne_u32_e32 vcc_lo, 0, v8
	v_cvt_f32_f16_e32 v3, v3
	v_add_nc_u32_e32 v22, 0xfffffc10, v23
	v_lshrrev_b32_e32 v1, 16, v1
	v_and_or_b32 v0, 0xffe, v21, v0
	s_wait_alu 0xfffd
	v_cndmask_b32_e64 v8, 0, 1, vcc_lo
	v_sub_nc_u32_e32 v21, 0x3f1, v23
	v_cmp_gt_i32_e32 vcc_lo, 31, v18
	v_and_or_b32 v5, 0x1ff, v6, v5
	v_or_b32_e32 v24, 0x1000, v0
	v_lshl_or_b32 v8, v8, 9, 0x7c00
	v_med3_i32 v21, v21, 0, 13
	s_wait_alu 0xfffd
	v_cndmask_b32_e32 v17, 0x7c00, v17, vcc_lo
	v_cmp_eq_u32_e32 vcc_lo, 0x40f, v18
	v_and_or_b32 v18, 0x8000, v14, v13
	v_cvt_f64_f32_e32 v[13:14], v3
	s_wait_alu 0xfffd
	v_cndmask_b32_e32 v8, v17, v8, vcc_lo
	v_lshrrev_b32_e32 v17, v21, v24
	v_cmp_ne_u32_e32 vcc_lo, 0, v5
	v_and_b32_e32 v18, 0xffff, v18
	s_delay_alu instid0(VALU_DEP_4) | instskip(NEXT) | instid1(VALU_DEP_4)
	v_and_or_b32 v25, 0x8000, v9, v8
	v_lshlrev_b32_e32 v8, v21, v17
	s_wait_alu 0xfffd
	v_cndmask_b32_e64 v5, 0, 1, vcc_lo
	v_lshrrev_b32_e32 v9, 8, v6
	v_bfe_u32 v21, v6, 20, 11
	v_lshl_or_b32 v25, v25, 16, v18
	v_cmp_ne_u32_e32 vcc_lo, v8, v24
	v_lshrrev_b32_e32 v6, 16, v6
	v_and_or_b32 v5, 0xffe, v9, v5
	v_sub_nc_u32_e32 v9, 0x3f1, v21
	v_add_nc_u32_e32 v21, 0xfffffc10, v21
	v_mul_f64_e32 v[15:16], s[8:9], v[15:16]
	s_wait_alu 0xfffd
	v_cndmask_b32_e64 v8, 0, 1, vcc_lo
	v_or_b32_e32 v23, 0x1000, v5
	v_med3_i32 v24, v9, 0, 13
	v_cmp_gt_i32_e32 vcc_lo, 1, v22
	s_delay_alu instid0(VALU_DEP_4) | instskip(SKIP_1) | instid1(VALU_DEP_4)
	v_or_b32_e32 v3, v17, v8
	v_lshl_or_b32 v17, v22, 12, v0
	v_lshrrev_b32_e32 v27, v24, v23
	ds_load_2addr_b32 v[8:9], v48 offset0:76 offset1:131
	s_wait_alu 0xfffd
	v_cndmask_b32_e32 v3, v17, v3, vcc_lo
	v_add_co_u32 v11, vcc_lo, v19, v11
	s_wait_alu 0xfffd
	v_add_co_ci_u32_e32 v12, vcc_lo, v20, v12, vcc_lo
	v_lshlrev_b32_e32 v20, v24, v27
	v_and_b32_e32 v19, 7, v3
	v_add_co_u32 v17, vcc_lo, v11, s2
	s_wait_alu 0xfffd
	v_add_co_ci_u32_e32 v18, vcc_lo, s3, v12, vcc_lo
	v_cmp_ne_u32_e64 s0, v20, v23
	v_cmp_lt_i32_e32 vcc_lo, 5, v19
	v_lshrrev_b32_e32 v3, 2, v3
	v_mul_f64_e32 v[13:14], s[8:9], v[13:14]
	s_wait_alu 0xf1ff
	v_cndmask_b32_e64 v20, 0, 1, s0
	v_cmp_eq_u32_e64 s0, 3, v19
	s_wait_dscnt 0x0
	v_lshrrev_b32_e32 v23, 16, v8
	s_delay_alu instid0(VALU_DEP_3) | instskip(NEXT) | instid1(VALU_DEP_3)
	v_or_b32_e32 v19, v27, v20
	s_or_b32 vcc_lo, s0, vcc_lo
	v_lshl_or_b32 v20, v21, 12, v5
	s_wait_alu 0xfffe
	v_add_co_ci_u32_e32 v3, vcc_lo, 0, v3, vcc_lo
	v_cmp_gt_i32_e32 vcc_lo, 1, v21
	v_and_or_b32 v15, 0x1ff, v16, v15
	v_mul_f16_e32 v24, v30, v23
	v_bfe_u32 v29, v16, 20, 11
	s_wait_alu 0xfffd
	v_cndmask_b32_e32 v27, v20, v19, vcc_lo
	v_cmp_gt_i32_e32 vcc_lo, 31, v22
	v_cmp_ne_u32_e64 s0, 0, v15
	v_fmac_f16_e64 v24, v200, v8
	s_delay_alu instid0(VALU_DEP_4)
	v_and_b32_e32 v28, 7, v27
	s_wait_alu 0xfffd
	v_cndmask_b32_e32 v3, 0x7c00, v3, vcc_lo
	v_cmp_ne_u32_e32 vcc_lo, 0, v0
	s_wait_alu 0xf1ff
	v_cndmask_b32_e64 v15, 0, 1, s0
	v_lshrrev_b32_e32 v27, 2, v27
	v_cmp_eq_u32_e64 s0, 3, v28
	v_cvt_f32_f16_e32 v19, v24
	s_wait_alu 0xfffd
	v_cndmask_b32_e64 v0, 0, 1, vcc_lo
	v_cmp_lt_i32_e32 vcc_lo, 5, v28
	v_lshrrev_b32_e32 v24, 8, v16
	v_cvt_f64_f32_e32 v[19:20], v19
	s_delay_alu instid0(VALU_DEP_4) | instskip(SKIP_1) | instid1(VALU_DEP_3)
	v_lshl_or_b32 v0, v0, 9, 0x7c00
	s_or_b32 vcc_lo, s0, vcc_lo
	v_and_or_b32 v15, 0xffe, v24, v15
	s_wait_alu 0xfffe
	v_add_co_ci_u32_e32 v27, vcc_lo, 0, v27, vcc_lo
	v_cmp_ne_u32_e32 vcc_lo, 0, v5
	v_sub_nc_u32_e32 v24, 0x3f1, v29
	v_or_b32_e32 v28, 0x1000, v15
	s_wait_alu 0xfffd
	v_cndmask_b32_e64 v5, 0, 1, vcc_lo
	v_cmp_gt_i32_e32 vcc_lo, 31, v21
	v_med3_i32 v24, v24, 0, 13
	s_delay_alu instid0(VALU_DEP_3)
	v_lshl_or_b32 v5, v5, 9, 0x7c00
	s_wait_alu 0xfffd
	v_cndmask_b32_e32 v27, 0x7c00, v27, vcc_lo
	v_cmp_eq_u32_e32 vcc_lo, 0x40f, v22
	v_add_nc_u32_e32 v22, 0xfffffc10, v29
	v_lshrrev_b32_e32 v29, 16, v197
	s_wait_alu 0xfffd
	v_cndmask_b32_e32 v0, v3, v0, vcc_lo
	v_lshrrev_b32_e32 v3, v24, v28
	v_cmp_eq_u32_e32 vcc_lo, 0x40f, v21
	s_delay_alu instid0(VALU_DEP_3) | instskip(NEXT) | instid1(VALU_DEP_3)
	v_and_or_b32 v0, 0x8000, v1, v0
	v_lshlrev_b32_e32 v21, v24, v3
	s_wait_alu 0xfffd
	v_cndmask_b32_e32 v5, v27, v5, vcc_lo
	v_mul_f16_e32 v1, v30, v8
	v_and_or_b32 v8, 0x1ff, v14, v13
	v_cmp_ne_u32_e32 vcc_lo, v21, v28
	s_delay_alu instid0(VALU_DEP_4) | instskip(NEXT) | instid1(VALU_DEP_4)
	v_and_or_b32 v13, 0x8000, v6, v5
	v_fma_f16 v1, v200, v23, -v1
	v_lshrrev_b32_e32 v6, 8, v14
	v_mul_f64_e32 v[19:20], s[8:9], v[19:20]
	s_wait_alu 0xfffd
	v_cndmask_b32_e64 v21, 0, 1, vcc_lo
	v_cmp_ne_u32_e32 vcc_lo, 0, v8
	v_bfe_u32 v8, v14, 20, 11
	v_cvt_f32_f16_e32 v1, v1
	v_and_b32_e32 v28, 0xffff, v0
	v_or_b32_e32 v3, v3, v21
	s_wait_alu 0xfffd
	v_cndmask_b32_e64 v5, 0, 1, vcc_lo
	v_sub_nc_u32_e32 v24, 0x3f1, v8
	v_lshl_or_b32 v21, v22, 12, v15
	v_cmp_gt_i32_e32 vcc_lo, 1, v22
	v_add_nc_u32_e32 v8, 0xfffffc10, v8
	v_and_or_b32 v23, 0xffe, v6, v5
	v_cvt_f64_f32_e32 v[5:6], v1
	v_med3_i32 v24, v24, 0, 13
	s_wait_alu 0xfffd
	v_cndmask_b32_e32 v3, v21, v3, vcc_lo
	ds_load_2addr_b32 v[0:1], v50 offset0:40 offset1:95
	v_or_b32_e32 v27, 0x1000, v23
	s_clause 0x1
	global_store_b32 v[11:12], v26, off
	global_store_b32 v[17:18], v25, off
	v_add_co_u32 v11, vcc_lo, v17, s2
	s_wait_alu 0xfffd
	v_add_co_ci_u32_e32 v12, vcc_lo, s3, v18, vcc_lo
	v_lshrrev_b32_e32 v21, v24, v27
	v_lshl_or_b32 v25, v13, 16, v28
	v_and_b32_e32 v13, 7, v3
	v_lshrrev_b32_e32 v3, 2, v3
	s_delay_alu instid0(VALU_DEP_4)
	v_lshlrev_b32_e32 v24, v24, v21
	global_store_b32 v[11:12], v25, off
	v_cmp_eq_u32_e64 s0, 3, v13
	v_cmp_ne_u32_e32 vcc_lo, v24, v27
	s_wait_alu 0xfffd
	v_cndmask_b32_e64 v17, 0, 1, vcc_lo
	v_cmp_lt_i32_e32 vcc_lo, 5, v13
	v_and_or_b32 v19, 0x1ff, v20, v19
	v_bfe_u32 v27, v20, 20, 11
	s_delay_alu instid0(VALU_DEP_4)
	v_or_b32_e32 v13, v21, v17
	s_or_b32 vcc_lo, s0, vcc_lo
	v_lshl_or_b32 v17, v8, 12, v23
	s_wait_alu 0xfffe
	v_add_co_ci_u32_e32 v3, vcc_lo, 0, v3, vcc_lo
	v_cmp_gt_i32_e32 vcc_lo, 1, v8
	s_wait_dscnt 0x0
	v_lshrrev_b32_e32 v21, 16, v1
	s_wait_alu 0xfffd
	v_cndmask_b32_e32 v13, v17, v13, vcc_lo
	v_cmp_gt_i32_e32 vcc_lo, 31, v22
	s_delay_alu instid0(VALU_DEP_3)
	v_mul_f16_e32 v24, v29, v21
	v_mul_f64_e32 v[17:18], s[8:9], v[5:6]
	s_wait_alu 0xfffd
	v_dual_cndmask_b32 v3, 0x7c00, v3 :: v_dual_and_b32 v26, 7, v13
	v_cmp_ne_u32_e32 vcc_lo, 0, v19
	v_fmac_f16_e64 v24, v197, v1
	v_lshrrev_b32_e32 v13, 2, v13
	s_delay_alu instid0(VALU_DEP_4)
	v_cmp_eq_u32_e64 s0, 3, v26
	v_mul_f16_e32 v1, v29, v1
	s_wait_alu 0xfffd
	v_cndmask_b32_e64 v19, 0, 1, vcc_lo
	v_cmp_ne_u32_e32 vcc_lo, 0, v15
	v_cvt_f32_f16_e32 v5, v24
	v_lshrrev_b32_e32 v24, 8, v20
	v_fma_f16 v1, v197, v21, -v1
	v_lshrrev_b32_e32 v29, 16, v192
	s_wait_alu 0xfffd
	v_cndmask_b32_e64 v15, 0, 1, vcc_lo
	v_cmp_lt_i32_e32 vcc_lo, 5, v26
	v_cvt_f64_f32_e32 v[5:6], v5
	v_and_or_b32 v19, 0xffe, v24, v19
	v_sub_nc_u32_e32 v24, 0x3f1, v27
	v_lshl_or_b32 v15, v15, 9, 0x7c00
	s_or_b32 vcc_lo, s0, vcc_lo
	v_cvt_f32_f16_e32 v1, v1
	s_wait_alu 0xfffe
	v_add_co_ci_u32_e32 v13, vcc_lo, 0, v13, vcc_lo
	v_cmp_ne_u32_e32 vcc_lo, 0, v23
	v_or_b32_e32 v26, 0x1000, v19
	v_med3_i32 v24, v24, 0, 13
	s_wait_alu 0xfffd
	v_cndmask_b32_e64 v23, 0, 1, vcc_lo
	v_cmp_eq_u32_e32 vcc_lo, 0x40f, v22
	s_delay_alu instid0(VALU_DEP_3)
	v_lshrrev_b32_e32 v28, v24, v26
	s_wait_alu 0xfffd
	v_cndmask_b32_e32 v3, v3, v15, vcc_lo
	v_cmp_gt_i32_e32 vcc_lo, 31, v8
	v_lshl_or_b32 v15, v23, 9, 0x7c00
	v_lshlrev_b32_e32 v22, v24, v28
	v_add_nc_u32_e32 v24, 0xfffffc10, v27
	v_lshrrev_b32_e32 v23, 16, v16
	s_wait_alu 0xfffd
	v_cndmask_b32_e32 v13, 0x7c00, v13, vcc_lo
	v_cmp_eq_u32_e32 vcc_lo, 0x40f, v8
	v_lshrrev_b32_e32 v27, 8, v18
	v_and_or_b32 v3, 0x8000, v23, v3
	s_wait_alu 0xfffd
	v_cndmask_b32_e32 v8, v13, v15, vcc_lo
	v_cmp_ne_u32_e32 vcc_lo, v22, v26
	v_and_or_b32 v15, 0x1ff, v18, v17
	v_lshl_or_b32 v22, v24, 12, v19
	v_lshrrev_b32_e32 v17, 16, v14
	v_and_b32_e32 v3, 0xffff, v3
	s_wait_alu 0xfffd
	v_cndmask_b32_e64 v13, 0, 1, vcc_lo
	v_cmp_ne_u32_e32 vcc_lo, 0, v15
	v_cvt_f64_f32_e32 v[15:16], v1
	v_and_or_b32 v8, 0x8000, v17, v8
	s_delay_alu instid0(VALU_DEP_4)
	v_or_b32_e32 v21, v28, v13
	s_wait_alu 0xfffd
	v_cndmask_b32_e64 v26, 0, 1, vcc_lo
	v_cmp_gt_i32_e32 vcc_lo, 1, v24
	v_mul_f64_e32 v[13:14], s[8:9], v[5:6]
	v_bfe_u32 v28, v18, 20, 11
	ds_load_2addr_b32 v[5:6], v44 offset0:114 offset1:169
	v_and_or_b32 v17, 0xffe, v27, v26
	s_wait_alu 0xfffd
	v_cndmask_b32_e32 v1, v22, v21, vcc_lo
	v_lshl_or_b32 v3, v8, 16, v3
	v_sub_nc_u32_e32 v21, 0x3f1, v28
	v_or_b32_e32 v23, 0x1000, v17
	s_delay_alu instid0(VALU_DEP_4) | instskip(SKIP_1) | instid1(VALU_DEP_4)
	v_and_b32_e32 v22, 7, v1
	v_lshrrev_b32_e32 v1, 2, v1
	v_med3_i32 v21, v21, 0, 13
	s_delay_alu instid0(VALU_DEP_3) | instskip(SKIP_1) | instid1(VALU_DEP_3)
	v_cmp_lt_i32_e32 vcc_lo, 5, v22
	v_cmp_eq_u32_e64 s0, 3, v22
	v_lshrrev_b32_e32 v22, v21, v23
	s_delay_alu instid0(VALU_DEP_2) | instskip(NEXT) | instid1(VALU_DEP_1)
	s_or_b32 vcc_lo, s0, vcc_lo
	v_lshlrev_b32_e32 v8, v21, v22
	s_wait_alu 0xfffe
	v_add_co_ci_u32_e32 v1, vcc_lo, 0, v1, vcc_lo
	v_add_co_u32 v11, vcc_lo, v11, s2
	s_wait_alu 0xfffd
	v_add_co_ci_u32_e32 v12, vcc_lo, s3, v12, vcc_lo
	v_cmp_gt_i32_e32 vcc_lo, 31, v24
	s_wait_dscnt 0x0
	v_lshrrev_b32_e32 v25, 16, v5
	global_store_b32 v[11:12], v3, off
	v_mul_f64_e32 v[15:16], s[8:9], v[15:16]
	s_wait_alu 0xfffd
	v_cndmask_b32_e32 v1, 0x7c00, v1, vcc_lo
	v_cmp_ne_u32_e32 vcc_lo, v8, v23
	v_add_nc_u32_e32 v23, 0xfffffc10, v28
	v_mul_f16_e32 v21, v29, v25
	v_and_or_b32 v13, 0x1ff, v14, v13
	s_wait_alu 0xfffd
	v_cndmask_b32_e64 v8, 0, 1, vcc_lo
	v_cmp_ne_u32_e32 vcc_lo, 0, v19
	v_fmac_f16_e64 v21, v192, v5
	v_lshrrev_b32_e32 v26, 8, v14
	v_bfe_u32 v27, v14, 20, 11
	v_or_b32_e32 v8, v22, v8
	s_wait_alu 0xfffd
	v_cndmask_b32_e64 v19, 0, 1, vcc_lo
	v_lshl_or_b32 v22, v23, 12, v17
	v_cmp_gt_i32_e32 vcc_lo, 1, v23
	v_cvt_f32_f16_e32 v21, v21
	v_mul_f16_e32 v5, v29, v5
	v_lshl_or_b32 v19, v19, 9, 0x7c00
	s_wait_alu 0xfffd
	v_cndmask_b32_e32 v8, v22, v8, vcc_lo
	v_cmp_ne_u32_e32 vcc_lo, 0, v13
	v_cvt_f64_f32_e32 v[21:22], v21
	v_fma_f16 v5, v192, v25, -v5
	s_delay_alu instid0(VALU_DEP_4)
	v_and_b32_e32 v28, 7, v8
	s_wait_alu 0xfffd
	v_cndmask_b32_e64 v13, 0, 1, vcc_lo
	v_cmp_eq_u32_e32 vcc_lo, 0x40f, v24
	v_lshrrev_b32_e32 v8, 2, v8
	v_cvt_f32_f16_e32 v5, v5
	v_cmp_eq_u32_e64 s0, 3, v28
	v_and_or_b32 v13, 0xffe, v26, v13
	v_sub_nc_u32_e32 v26, 0x3f1, v27
	s_wait_alu 0xfffd
	v_cndmask_b32_e32 v1, v1, v19, vcc_lo
	v_cmp_lt_i32_e32 vcc_lo, 5, v28
	v_lshrrev_b32_e32 v19, 16, v20
	v_or_b32_e32 v20, 0x1000, v13
	v_med3_i32 v24, v26, 0, 13
	v_and_or_b32 v15, 0x1ff, v16, v15
	s_or_b32 vcc_lo, s0, vcc_lo
	v_and_or_b32 v1, 0x8000, v19, v1
	s_wait_alu 0xfffe
	v_add_co_ci_u32_e32 v8, vcc_lo, 0, v8, vcc_lo
	v_lshrrev_b32_e32 v26, v24, v20
	v_cmp_ne_u32_e32 vcc_lo, 0, v17
	v_and_b32_e32 v1, 0xffff, v1
	s_delay_alu instid0(VALU_DEP_3) | instskip(SKIP_3) | instid1(VALU_DEP_2)
	v_lshlrev_b32_e32 v19, v24, v26
	s_wait_alu 0xfffd
	v_cndmask_b32_e64 v17, 0, 1, vcc_lo
	v_cmp_gt_i32_e32 vcc_lo, 31, v23
	v_lshl_or_b32 v17, v17, 9, 0x7c00
	s_wait_alu 0xfffd
	v_cndmask_b32_e32 v8, 0x7c00, v8, vcc_lo
	v_cmp_ne_u32_e32 vcc_lo, v19, v20
	v_cvt_f64_f32_e32 v[19:20], v5
	v_add_nc_u32_e32 v5, 0xfffffc10, v27
	v_bfe_u32 v27, v16, 20, 11
	s_wait_alu 0xfffd
	v_cndmask_b32_e64 v24, 0, 1, vcc_lo
	v_cmp_eq_u32_e32 vcc_lo, 0x40f, v23
	v_lshl_or_b32 v25, v5, 12, v13
	v_lshrrev_b32_e32 v23, 16, v18
	s_delay_alu instid0(VALU_DEP_4)
	v_or_b32_e32 v24, v26, v24
	s_wait_alu 0xfffd
	v_cndmask_b32_e32 v8, v8, v17, vcc_lo
	v_cmp_ne_u32_e32 vcc_lo, 0, v15
	v_lshrrev_b32_e32 v26, 8, v16
	v_mul_f64_e32 v[17:18], s[8:9], v[21:22]
	v_sub_nc_u32_e32 v22, 0x3f1, v27
	v_and_or_b32 v8, 0x8000, v23, v8
	s_wait_alu 0xfffd
	v_cndmask_b32_e64 v15, 0, 1, vcc_lo
	v_cmp_gt_i32_e32 vcc_lo, 1, v5
	s_delay_alu instid0(VALU_DEP_3) | instskip(NEXT) | instid1(VALU_DEP_3)
	v_lshl_or_b32 v1, v8, 16, v1
	v_and_or_b32 v15, 0xffe, v26, v15
	s_wait_alu 0xfffd
	v_cndmask_b32_e32 v21, v25, v24, vcc_lo
	v_med3_i32 v24, v22, 0, 13
	v_lshrrev_b32_e32 v25, 16, v10
	v_or_b32_e32 v3, 0x1000, v15
	s_delay_alu instid0(VALU_DEP_4)
	v_and_b32_e32 v23, 7, v21
	v_lshrrev_b32_e32 v8, 2, v21
	v_add_co_u32 v21, s1, v11, s2
	s_wait_alu 0xf1ff
	v_add_co_ci_u32_e64 v22, s1, s3, v12, s1
	v_cmp_lt_i32_e32 vcc_lo, 5, v23
	v_cmp_eq_u32_e64 s0, 3, v23
	v_lshrrev_b32_e32 v23, v24, v3
	global_store_b32 v[21:22], v1, off
	s_or_b32 vcc_lo, s0, vcc_lo
	v_lshlrev_b32_e32 v11, v24, v23
	s_wait_alu 0xfffe
	v_add_co_ci_u32_e32 v8, vcc_lo, 0, v8, vcc_lo
	v_cmp_ne_u32_e32 vcc_lo, 0, v13
	v_mul_f64_e32 v[12:13], s[8:9], v[19:20]
	s_wait_alu 0xfffd
	v_cndmask_b32_e64 v24, 0, 1, vcc_lo
	v_cmp_ne_u32_e32 vcc_lo, v11, v3
	v_add_nc_u32_e32 v11, 0xfffffc10, v27
	v_lshrrev_b32_e32 v27, 16, v191
	v_and_or_b32 v17, 0x1ff, v18, v17
	v_lshl_or_b32 v20, v24, 9, 0x7c00
	s_wait_alu 0xfffd
	v_cndmask_b32_e64 v3, 0, 1, vcc_lo
	v_cmp_gt_i32_e32 vcc_lo, 31, v5
	v_mul_f16_e32 v19, v27, v25
	v_bfe_u32 v24, v18, 20, 11
	s_delay_alu instid0(VALU_DEP_4)
	v_or_b32_e32 v3, v23, v3
	s_wait_alu 0xfffd
	v_cndmask_b32_e32 v8, 0x7c00, v8, vcc_lo
	v_cmp_eq_u32_e32 vcc_lo, 0x40f, v5
	v_lshl_or_b32 v23, v11, 12, v15
	v_fmac_f16_e64 v19, v191, v10
	v_mul_f16_e32 v10, v27, v10
	s_wait_alu 0xfffd
	v_cndmask_b32_e32 v5, v8, v20, vcc_lo
	v_cmp_gt_i32_e32 vcc_lo, 1, v11
	v_cvt_f32_f16_e32 v8, v19
	v_fma_f16 v10, v191, v25, -v10
	s_wait_alu 0xfffd
	v_cndmask_b32_e32 v3, v23, v3, vcc_lo
	v_cmp_ne_u32_e32 vcc_lo, 0, v17
	v_lshrrev_b32_e32 v23, 8, v18
	v_cvt_f64_f32_e32 v[19:20], v8
	v_lshrrev_b32_e32 v8, 16, v14
	v_and_b32_e32 v26, 7, v3
	s_wait_alu 0xfffd
	v_cndmask_b32_e64 v17, 0, 1, vcc_lo
	v_lshrrev_b32_e32 v3, 2, v3
	v_sub_nc_u32_e32 v14, 0x3f1, v24
	v_cvt_f32_f16_e32 v10, v10
	v_cmp_lt_i32_e32 vcc_lo, 5, v26
	v_cmp_eq_u32_e64 s0, 3, v26
	v_and_or_b32 v17, 0xffe, v23, v17
	v_med3_i32 v14, v14, 0, 13
	v_and_or_b32 v12, 0x1ff, v13, v12
	v_lshrrev_b32_e32 v28, 8, v13
	s_or_b32 vcc_lo, s0, vcc_lo
	v_or_b32_e32 v23, 0x1000, v17
	s_wait_alu 0xfffe
	v_add_co_ci_u32_e32 v3, vcc_lo, 0, v3, vcc_lo
	v_cmp_ne_u32_e32 vcc_lo, 0, v15
	v_add_nc_u32_e32 v24, 0xfffffc10, v24
	v_lshrrev_b32_e32 v26, v14, v23
	v_and_or_b32 v5, 0x8000, v8, v5
	s_wait_alu 0xfffd
	v_cndmask_b32_e64 v15, 0, 1, vcc_lo
	v_cmp_gt_i32_e32 vcc_lo, 31, v11
	v_lshlrev_b32_e32 v27, v14, v26
	v_and_b32_e32 v5, 0xffff, v5
	s_delay_alu instid0(VALU_DEP_4)
	v_lshl_or_b32 v25, v15, 9, 0x7c00
	s_wait_alu 0xfffd
	v_cndmask_b32_e32 v3, 0x7c00, v3, vcc_lo
	v_cmp_ne_u32_e32 vcc_lo, 0, v12
	v_cvt_f64_f32_e32 v[14:15], v10
	s_wait_alu 0xfffd
	v_cndmask_b32_e64 v12, 0, 1, vcc_lo
	v_cmp_ne_u32_e32 vcc_lo, v27, v23
	v_bfe_u32 v23, v13, 20, 11
	v_lshrrev_b32_e32 v13, 16, v13
	v_mul_f64_e32 v[19:20], s[8:9], v[19:20]
	v_and_or_b32 v27, 0xffe, v28, v12
	s_wait_alu 0xfffd
	v_cndmask_b32_e64 v10, 0, 1, vcc_lo
	v_cmp_eq_u32_e32 vcc_lo, 0x40f, v11
	v_lshl_or_b32 v12, v24, 12, v17
	v_sub_nc_u32_e32 v11, 0x3f1, v23
	v_add_nc_u32_e32 v23, 0xfffffc10, v23
	v_or_b32_e32 v10, v26, v10
	s_wait_alu 0xfffd
	v_cndmask_b32_e32 v3, v3, v25, vcc_lo
	v_cmp_gt_i32_e32 vcc_lo, 1, v24
	v_or_b32_e32 v25, 0x1000, v27
	v_med3_i32 v26, v11, 0, 13
	v_lshrrev_b32_e32 v11, 16, v16
	s_wait_alu 0xfffd
	v_cndmask_b32_e32 v10, v12, v10, vcc_lo
	s_delay_alu instid0(VALU_DEP_3) | instskip(NEXT) | instid1(VALU_DEP_3)
	v_lshrrev_b32_e32 v1, v26, v25
	v_and_or_b32 v3, 0x8000, v11, v3
	ds_load_2addr_b32 v[11:12], v46 offset0:74 offset1:129
	v_and_b32_e32 v8, 7, v10
	v_lshlrev_b32_e32 v16, v26, v1
	v_lshrrev_b32_e32 v26, 16, v189
	v_lshl_or_b32 v3, v3, 16, v5
	s_delay_alu instid0(VALU_DEP_4) | instskip(SKIP_3) | instid1(VALU_DEP_3)
	v_cmp_lt_i32_e32 vcc_lo, 5, v8
	v_cmp_eq_u32_e64 s0, 3, v8
	v_lshrrev_b32_e32 v8, 2, v10
	v_cmp_ne_u32_e64 s1, v16, v25
	s_or_b32 vcc_lo, s0, vcc_lo
	v_mul_f64_e32 v[14:15], s[8:9], v[14:15]
	s_wait_alu 0xfffe
	v_add_co_ci_u32_e32 v8, vcc_lo, 0, v8, vcc_lo
	v_cmp_ne_u32_e32 vcc_lo, 0, v17
	v_cndmask_b32_e64 v10, 0, 1, s1
	s_wait_dscnt 0x0
	v_lshrrev_b32_e32 v25, 16, v11
	s_wait_alu 0xfffd
	v_cndmask_b32_e64 v16, 0, 1, vcc_lo
	v_cmp_gt_i32_e32 vcc_lo, 31, v24
	v_or_b32_e32 v1, v1, v10
	v_lshl_or_b32 v10, v23, 12, v27
	s_delay_alu instid0(VALU_DEP_4)
	v_lshl_or_b32 v16, v16, 9, 0x7c00
	s_wait_alu 0xfffd
	v_cndmask_b32_e32 v8, 0x7c00, v8, vcc_lo
	v_cmp_gt_i32_e32 vcc_lo, 1, v23
	s_wait_alu 0xfffd
	v_cndmask_b32_e32 v1, v10, v1, vcc_lo
	v_cmp_eq_u32_e32 vcc_lo, 0x40f, v24
	v_mul_f16_e32 v10, v26, v25
	s_wait_alu 0xfffd
	s_delay_alu instid0(VALU_DEP_3) | instskip(SKIP_3) | instid1(VALU_DEP_4)
	v_dual_cndmask_b32 v8, v8, v16 :: v_dual_and_b32 v17, 7, v1
	v_lshrrev_b32_e32 v16, 16, v18
	v_and_or_b32 v18, 0x1ff, v20, v19
	v_fmac_f16_e64 v10, v189, v11
	v_cmp_lt_i32_e32 vcc_lo, 5, v17
	v_lshrrev_b32_e32 v1, 2, v1
	v_and_or_b32 v5, 0x8000, v16, v8
	v_cmp_ne_u32_e64 s0, 0, v18
	v_cvt_f32_f16_e32 v10, v10
	v_lshrrev_b32_e32 v18, 8, v20
	v_bfe_u32 v19, v20, 20, 11
	v_mul_f16_e32 v11, v26, v11
	s_wait_alu 0xf1ff
	v_cndmask_b32_e64 v8, 0, 1, s0
	v_cmp_eq_u32_e64 s0, 3, v17
	v_cvt_f64_f32_e32 v[16:17], v10
	v_sub_nc_u32_e32 v10, 0x3f1, v19
	v_and_or_b32 v14, 0x1ff, v15, v14
	v_and_or_b32 v8, 0xffe, v18, v8
	s_or_b32 vcc_lo, s0, vcc_lo
	v_fma_f16 v11, v189, v25, -v11
	s_wait_alu 0xfffe
	v_add_co_ci_u32_e32 v1, vcc_lo, 0, v1, vcc_lo
	v_cmp_ne_u32_e32 vcc_lo, 0, v27
	v_or_b32_e32 v24, 0x1000, v8
	v_med3_i32 v10, v10, 0, 13
	v_bfe_u32 v25, v15, 20, 11
	v_and_b32_e32 v5, 0xffff, v5
	s_wait_alu 0xfffd
	v_cndmask_b32_e64 v18, 0, 1, vcc_lo
	v_cmp_gt_i32_e32 vcc_lo, 31, v23
	v_lshrrev_b32_e32 v26, v10, v24
	s_delay_alu instid0(VALU_DEP_3)
	v_lshl_or_b32 v18, v18, 9, 0x7c00
	s_wait_alu 0xfffd
	v_cndmask_b32_e32 v1, 0x7c00, v1, vcc_lo
	v_cmp_eq_u32_e32 vcc_lo, 0x40f, v23
	v_lshrrev_b32_e32 v23, 8, v15
	v_lshrrev_b32_e32 v15, 16, v15
	s_wait_alu 0xfffd
	v_cndmask_b32_e32 v1, v1, v18, vcc_lo
	v_lshlrev_b32_e32 v18, v10, v26
	v_cmp_ne_u32_e32 vcc_lo, 0, v14
	v_cvt_f32_f16_e32 v10, v11
	s_delay_alu instid0(VALU_DEP_4)
	v_and_or_b32 v1, 0x8000, v13, v1
	s_wait_alu 0xfffd
	v_cndmask_b32_e64 v14, 0, 1, vcc_lo
	v_cmp_ne_u32_e32 vcc_lo, v18, v24
	v_cvt_f64_f32_e32 v[10:11], v10
	v_add_nc_u32_e32 v24, 0xfffffc10, v19
	v_lshl_or_b32 v1, v1, 16, v5
	v_and_or_b32 v23, 0xffe, v23, v14
	s_wait_alu 0xfffd
	v_cndmask_b32_e64 v18, 0, 1, vcc_lo
	v_sub_nc_u32_e32 v14, 0x3f1, v25
	v_lshl_or_b32 v19, v24, 12, v8
	v_cmp_gt_i32_e32 vcc_lo, 1, v24
	v_add_nc_u32_e32 v25, 0xfffffc10, v25
	v_or_b32_e32 v18, v26, v18
	v_or_b32_e32 v26, 0x1000, v23
	v_med3_i32 v27, v14, 0, 13
	v_mul_f64_e32 v[13:14], s[8:9], v[16:17]
	s_wait_alu 0xfffd
	v_cndmask_b32_e32 v28, v19, v18, vcc_lo
	v_add_co_u32 v16, vcc_lo, v21, s2
	v_lshrrev_b32_e32 v29, v27, v26
	s_wait_alu 0xfffd
	v_add_co_ci_u32_e32 v17, vcc_lo, s3, v22, vcc_lo
	v_and_b32_e32 v5, 7, v28
	v_add_co_u32 v18, vcc_lo, v16, s2
	v_lshlrev_b32_e32 v21, v27, v29
	s_wait_alu 0xfffd
	v_add_co_ci_u32_e32 v19, vcc_lo, s3, v17, vcc_lo
	v_cmp_lt_i32_e32 vcc_lo, 5, v5
	v_cmp_eq_u32_e64 s0, 3, v5
	v_cmp_ne_u32_e64 s1, v21, v26
	v_lshrrev_b32_e32 v5, 2, v28
	v_lshrrev_b32_e32 v26, 16, v7
	v_lshl_or_b32 v28, v25, 12, v23
	s_or_b32 vcc_lo, s0, vcc_lo
	v_cndmask_b32_e64 v21, 0, 1, s1
	s_wait_alu 0xfffe
	v_add_co_ci_u32_e32 v5, vcc_lo, 0, v5, vcc_lo
	v_cmp_ne_u32_e32 vcc_lo, 0, v8
	s_delay_alu instid0(VALU_DEP_3)
	v_or_b32_e32 v27, v29, v21
	v_lshrrev_b32_e32 v29, 16, v188
	v_mul_f64_e32 v[21:22], s[8:9], v[10:11]
	s_wait_alu 0xfffd
	v_cndmask_b32_e64 v8, 0, 1, vcc_lo
	v_cmp_gt_i32_e32 vcc_lo, 1, v25
	v_mul_f16_e32 v10, v29, v26
	s_delay_alu instid0(VALU_DEP_3)
	v_lshl_or_b32 v8, v8, 9, 0x7c00
	s_wait_alu 0xfffd
	v_cndmask_b32_e32 v27, v28, v27, vcc_lo
	v_cmp_gt_i32_e32 vcc_lo, 31, v24
	v_fmac_f16_e64 v10, v188, v7
	v_and_or_b32 v13, 0x1ff, v14, v13
	v_mul_f16_e32 v7, v29, v7
	s_wait_alu 0xfffd
	v_dual_cndmask_b32 v5, 0x7c00, v5 :: v_dual_and_b32 v28, 7, v27
	v_cvt_f32_f16_e32 v10, v10
	v_cmp_eq_u32_e32 vcc_lo, 0x40f, v24
	v_cmp_ne_u32_e64 s0, 0, v13
	v_bfe_u32 v24, v14, 20, 11
	v_fma_f16 v7, v188, v26, -v7
	v_cvt_f64_f32_e32 v[10:11], v10
	s_wait_alu 0xfffd
	v_cndmask_b32_e32 v5, v5, v8, vcc_lo
	v_lshrrev_b32_e32 v8, 16, v20
	v_cmp_lt_i32_e32 vcc_lo, 5, v28
	s_wait_alu 0xf1ff
	v_cndmask_b32_e64 v13, 0, 1, s0
	v_cmp_eq_u32_e64 s0, 3, v28
	v_lshrrev_b32_e32 v20, 8, v14
	v_and_or_b32 v5, 0x8000, v8, v5
	v_lshrrev_b32_e32 v8, 2, v27
	v_cvt_f32_f16_e32 v7, v7
	s_or_b32 vcc_lo, s0, vcc_lo
	v_and_or_b32 v13, 0xffe, v20, v13
	v_sub_nc_u32_e32 v20, 0x3f1, v24
	s_wait_alu 0xfffe
	v_add_co_ci_u32_e32 v8, vcc_lo, 0, v8, vcc_lo
	v_cmp_ne_u32_e32 vcc_lo, 0, v23
	v_or_b32_e32 v27, 0x1000, v13
	v_med3_i32 v20, v20, 0, 13
	v_add_nc_u32_e32 v24, 0xfffffc10, v24
	v_and_or_b32 v21, 0x1ff, v22, v21
	s_wait_alu 0xfffd
	v_cndmask_b32_e64 v23, 0, 1, vcc_lo
	v_cmp_gt_i32_e32 vcc_lo, 31, v25
	v_lshrrev_b32_e32 v28, v20, v27
	v_lshrrev_b32_e32 v26, 8, v22
	v_bfe_u32 v29, v22, 20, 11
	v_lshl_or_b32 v23, v23, 9, 0x7c00
	s_wait_alu 0xfffd
	v_cndmask_b32_e32 v8, 0x7c00, v8, vcc_lo
	v_cmp_eq_u32_e32 vcc_lo, 0x40f, v25
	v_lshlrev_b32_e32 v20, v20, v28
	v_and_b32_e32 v5, 0xffff, v5
	v_lshrrev_b32_e32 v14, 16, v14
	s_wait_alu 0xfffd
	v_cndmask_b32_e32 v23, v8, v23, vcc_lo
	v_cmp_ne_u32_e32 vcc_lo, 0, v21
	v_cvt_f64_f32_e32 v[7:8], v7
	s_delay_alu instid0(VALU_DEP_3)
	v_and_or_b32 v15, 0x8000, v15, v23
	s_wait_alu 0xfffd
	v_cndmask_b32_e64 v25, 0, 1, vcc_lo
	v_cmp_ne_u32_e32 vcc_lo, v20, v27
	v_mul_f64_e32 v[20:21], s[8:9], v[10:11]
	v_sub_nc_u32_e32 v10, 0x3f1, v29
	s_delay_alu instid0(VALU_DEP_4)
	v_and_or_b32 v25, 0xffe, v26, v25
	s_wait_alu 0xfffd
	v_cndmask_b32_e64 v27, 0, 1, vcc_lo
	v_lshl_or_b32 v26, v24, 12, v13
	v_cmp_gt_i32_e32 vcc_lo, 1, v24
	v_or_b32_e32 v23, 0x1000, v25
	s_delay_alu instid0(VALU_DEP_4) | instskip(SKIP_2) | instid1(VALU_DEP_2)
	v_or_b32_e32 v11, v28, v27
	v_med3_i32 v27, v10, 0, 13
	s_wait_alu 0xfffd
	v_cndmask_b32_e32 v26, v26, v11, vcc_lo
	ds_load_2addr_b32 v[10:11], v51 offset0:112 offset1:167
	v_lshrrev_b32_e32 v28, v27, v23
	global_store_b32 v[16:17], v3, off
	global_store_b32 v[18:19], v1, off
	v_lshl_or_b32 v3, v15, 16, v5
	v_and_b32_e32 v1, 7, v26
	v_add_nc_u32_e32 v17, 0xfffffc10, v29
	v_lshlrev_b32_e32 v5, v27, v28
	v_lshrrev_b32_e32 v29, 16, v186
	s_delay_alu instid0(VALU_DEP_4) | instskip(SKIP_4) | instid1(VALU_DEP_4)
	v_cmp_lt_i32_e32 vcc_lo, 5, v1
	v_cmp_eq_u32_e64 s0, 3, v1
	v_lshrrev_b32_e32 v1, 2, v26
	v_cmp_ne_u32_e64 s1, v5, v23
	v_lshl_or_b32 v15, v17, 12, v25
	s_or_b32 vcc_lo, s0, vcc_lo
	s_wait_alu 0xfffe
	v_add_co_ci_u32_e32 v1, vcc_lo, 0, v1, vcc_lo
	v_cndmask_b32_e64 v5, 0, 1, s1
	v_cmp_ne_u32_e32 vcc_lo, 0, v13
	s_wait_dscnt 0x0
	v_lshrrev_b32_e32 v23, 16, v10
	v_mul_f64_e32 v[7:8], s[8:9], v[7:8]
	v_lshrrev_b32_e32 v27, 8, v21
	v_or_b32_e32 v5, v28, v5
	s_wait_alu 0xfffd
	v_cndmask_b32_e64 v13, 0, 1, vcc_lo
	v_cmp_gt_i32_e32 vcc_lo, 1, v17
	v_mul_f16_e32 v16, v29, v23
	v_bfe_u32 v28, v21, 20, 11
	v_cmp_eq_u32_e64 s1, 0x40f, v24
	v_lshl_or_b32 v13, v13, 9, 0x7c00
	s_wait_alu 0xfffd
	v_cndmask_b32_e32 v5, v15, v5, vcc_lo
	v_and_or_b32 v15, 0x1ff, v21, v20
	v_cmp_gt_i32_e32 vcc_lo, 31, v24
	v_fmac_f16_e64 v16, v186, v10
	v_mul_f16_e32 v10, v29, v10
	v_and_b32_e32 v20, 7, v5
	v_lshrrev_b32_e32 v5, 2, v5
	s_wait_alu 0xfffd
	v_cndmask_b32_e32 v1, 0x7c00, v1, vcc_lo
	v_cmp_ne_u32_e32 vcc_lo, 0, v15
	v_cvt_f32_f16_e32 v15, v16
	v_cmp_eq_u32_e64 s0, 3, v20
	v_fma_f16 v10, v186, v23, -v10
	s_wait_alu 0xf1ff
	v_cndmask_b32_e64 v1, v1, v13, s1
	s_wait_alu 0xfffd
	v_cndmask_b32_e64 v26, 0, 1, vcc_lo
	v_cmp_lt_i32_e32 vcc_lo, 5, v20
	v_cvt_f64_f32_e32 v[15:16], v15
	v_sub_nc_u32_e32 v20, 0x3f1, v28
	v_and_or_b32 v1, 0x8000, v14, v1
	v_and_or_b32 v26, 0xffe, v27, v26
	s_or_b32 vcc_lo, s0, vcc_lo
	v_cvt_f32_f16_e32 v10, v10
	s_wait_alu 0xfffe
	v_add_co_ci_u32_e32 v5, vcc_lo, 0, v5, vcc_lo
	v_or_b32_e32 v13, 0x1000, v26
	v_med3_i32 v20, v20, 0, 13
	v_cmp_ne_u32_e32 vcc_lo, 0, v25
	v_and_b32_e32 v1, 0xffff, v1
	v_lshrrev_b32_e32 v21, 16, v21
	s_delay_alu instid0(VALU_DEP_4)
	v_lshrrev_b32_e32 v25, v20, v13
	s_wait_alu 0xfffd
	v_cndmask_b32_e64 v24, 0, 1, vcc_lo
	v_cmp_gt_i32_e32 vcc_lo, 31, v17
	v_and_or_b32 v7, 0x1ff, v8, v7
	v_lshlrev_b32_e32 v14, v20, v25
	s_delay_alu instid0(VALU_DEP_4)
	v_lshl_or_b32 v24, v24, 9, 0x7c00
	s_wait_alu 0xfffd
	v_cndmask_b32_e32 v5, 0x7c00, v5, vcc_lo
	v_cmp_eq_u32_e32 vcc_lo, 0x40f, v17
	v_lshrrev_b32_e32 v17, 16, v22
	v_bfe_u32 v22, v8, 20, 11
	s_wait_alu 0xfffd
	v_cndmask_b32_e32 v5, v5, v24, vcc_lo
	v_cmp_ne_u32_e32 vcc_lo, v14, v13
	v_lshrrev_b32_e32 v14, 8, v8
	v_add_nc_u32_e32 v24, 0xfffffc10, v28
	v_sub_nc_u32_e32 v23, 0x3f1, v22
	v_and_or_b32 v5, 0x8000, v17, v5
	s_wait_alu 0xfffd
	v_cndmask_b32_e64 v13, 0, 1, vcc_lo
	v_cmp_ne_u32_e32 vcc_lo, 0, v7
	v_lshrrev_b32_e32 v28, 16, v9
	v_med3_i32 v23, v23, 0, 13
	v_lshl_or_b32 v1, v5, 16, v1
	v_or_b32_e32 v20, v25, v13
	s_wait_alu 0xfffd
	v_cndmask_b32_e64 v7, 0, 1, vcc_lo
	v_lshl_or_b32 v25, v24, 12, v26
	v_cmp_gt_i32_e32 vcc_lo, 1, v24
	s_delay_alu instid0(VALU_DEP_3)
	v_and_or_b32 v7, 0xffe, v14, v7
	v_mul_f64_e32 v[13:14], s[8:9], v[15:16]
	v_cvt_f64_f32_e32 v[15:16], v10
	s_wait_alu 0xfffd
	v_cndmask_b32_e32 v25, v25, v20, vcc_lo
	v_add_co_u32 v17, vcc_lo, v18, s4
	v_or_b32_e32 v10, 0x1000, v7
	s_wait_alu 0xfffd
	v_add_co_ci_u32_e32 v18, vcc_lo, s5, v19, vcc_lo
	v_and_b32_e32 v5, 7, v25
	v_add_co_u32 v19, vcc_lo, v17, s2
	v_lshrrev_b32_e32 v27, v23, v10
	s_wait_alu 0xfffd
	v_add_co_ci_u32_e32 v20, vcc_lo, s3, v18, vcc_lo
	v_cmp_lt_i32_e32 vcc_lo, 5, v5
	v_cmp_eq_u32_e64 s0, 3, v5
	v_lshlrev_b32_e32 v23, v23, v27
	v_lshrrev_b32_e32 v5, 2, v25
	v_add_nc_u32_e32 v25, 0xfffffc10, v22
	s_delay_alu instid0(VALU_DEP_4) | instskip(NEXT) | instid1(VALU_DEP_3)
	s_or_b32 vcc_lo, s0, vcc_lo
	v_cmp_ne_u32_e64 s1, v23, v10
	s_wait_alu 0xfffe
	v_add_co_ci_u32_e32 v5, vcc_lo, 0, v5, vcc_lo
	v_cmp_ne_u32_e32 vcc_lo, 0, v26
	v_mul_f16_e32 v23, v31, v28
	s_wait_alu 0xf1ff
	v_cndmask_b32_e64 v10, 0, 1, s1
	v_lshl_or_b32 v22, v25, 12, v7
	s_wait_alu 0xfffd
	v_cndmask_b32_e64 v26, 0, 1, vcc_lo
	v_cmp_gt_i32_e32 vcc_lo, 1, v25
	v_or_b32_e32 v10, v27, v10
	v_fmac_f16_e64 v23, v184, v9
	v_mul_f16_e32 v9, v31, v9
	v_lshl_or_b32 v26, v26, 9, 0x7c00
	s_wait_alu 0xfffd
	v_cndmask_b32_e32 v10, v22, v10, vcc_lo
	v_cmp_gt_i32_e32 vcc_lo, 31, v24
	v_and_or_b32 v13, 0x1ff, v14, v13
	v_mul_f64_e32 v[15:16], s[8:9], v[15:16]
	v_cvt_f32_f16_e32 v22, v23
	v_and_b32_e32 v27, 7, v10
	s_wait_alu 0xfffd
	v_cndmask_b32_e32 v5, 0x7c00, v5, vcc_lo
	v_cmp_ne_u32_e32 vcc_lo, 0, v13
	v_lshrrev_b32_e32 v29, 8, v14
	v_cvt_f64_f32_e32 v[22:23], v22
	v_bfe_u32 v30, v14, 20, 11
	v_cmp_eq_u32_e64 s0, 3, v27
	s_wait_alu 0xfffd
	v_cndmask_b32_e64 v13, 0, 1, vcc_lo
	v_cmp_eq_u32_e32 vcc_lo, 0x40f, v24
	v_lshrrev_b32_e32 v10, 2, v10
	v_sub_nc_u32_e32 v24, 0x3f1, v30
	v_fma_f16 v9, v184, v28, -v9
	v_and_or_b32 v13, 0xffe, v29, v13
	s_wait_alu 0xfffd
	v_cndmask_b32_e32 v5, v5, v26, vcc_lo
	v_cmp_lt_i32_e32 vcc_lo, 5, v27
	v_med3_i32 v24, v24, 0, 13
	v_cvt_f32_f16_e32 v9, v9
	v_or_b32_e32 v26, 0x1000, v13
	v_and_or_b32 v5, 0x8000, v21, v5
	s_or_b32 vcc_lo, s0, vcc_lo
	s_wait_alu 0xfffe
	v_add_co_ci_u32_e32 v10, vcc_lo, 0, v10, vcc_lo
	v_cmp_ne_u32_e32 vcc_lo, 0, v7
	v_lshrrev_b32_e32 v27, v24, v26
	v_and_b32_e32 v5, 0xffff, v5
	s_wait_alu 0xfffd
	v_cndmask_b32_e64 v7, 0, 1, vcc_lo
	v_cmp_gt_i32_e32 vcc_lo, 31, v25
	v_lshlrev_b32_e32 v21, v24, v27
	s_delay_alu instid0(VALU_DEP_3)
	v_lshl_or_b32 v7, v7, 9, 0x7c00
	s_wait_alu 0xfffd
	v_cndmask_b32_e32 v28, 0x7c00, v10, vcc_lo
	v_cvt_f64_f32_e32 v[9:10], v9
	v_cmp_eq_u32_e32 vcc_lo, 0x40f, v25
	v_lshrrev_b32_e32 v29, 8, v16
	s_wait_alu 0xfffd
	v_cndmask_b32_e32 v24, v28, v7, vcc_lo
	v_and_or_b32 v7, 0x1ff, v16, v15
	v_cmp_ne_u32_e32 vcc_lo, v21, v26
	v_mul_f64_e32 v[21:22], s[8:9], v[22:23]
	v_lshrrev_b32_e32 v15, 16, v8
	s_wait_alu 0xfffd
	v_cndmask_b32_e64 v25, 0, 1, vcc_lo
	v_cmp_ne_u32_e32 vcc_lo, 0, v7
	ds_load_2addr_b32 v[7:8], v50 offset0:150 offset1:205
	v_and_or_b32 v15, 0x8000, v15, v24
	global_store_b32 v[17:18], v3, off
	global_store_b32 v[19:20], v1, off
	v_or_b32_e32 v23, v27, v25
	v_add_nc_u32_e32 v26, 0xfffffc10, v30
	s_wait_alu 0xfffd
	v_cndmask_b32_e64 v28, 0, 1, vcc_lo
	v_bfe_u32 v30, v16, 20, 11
	v_lshl_or_b32 v1, v15, 16, v5
	v_lshl_or_b32 v24, v26, 12, v13
	s_delay_alu instid0(VALU_DEP_4) | instskip(NEXT) | instid1(VALU_DEP_4)
	v_and_or_b32 v25, 0xffe, v29, v28
	v_sub_nc_u32_e32 v27, 0x3f1, v30
	v_cmp_gt_i32_e32 vcc_lo, 1, v26
	v_lshrrev_b32_e32 v29, 16, v182
	s_delay_alu instid0(VALU_DEP_3)
	v_med3_i32 v27, v27, 0, 13
	s_wait_alu 0xfffd
	v_cndmask_b32_e32 v23, v24, v23, vcc_lo
	v_or_b32_e32 v24, 0x1000, v25
	v_add_co_u32 v17, vcc_lo, v19, s2
	s_wait_dscnt 0x0
	v_lshrrev_b32_e32 v15, 16, v7
	v_and_b32_e32 v3, 7, v23
	v_lshrrev_b32_e32 v5, v27, v24
	s_wait_alu 0xfffd
	v_add_co_ci_u32_e32 v18, vcc_lo, s3, v20, vcc_lo
	v_mul_f64_e32 v[9:10], s[8:9], v[9:10]
	v_cmp_lt_i32_e32 vcc_lo, 5, v3
	v_lshlrev_b32_e32 v19, v27, v5
	v_cmp_eq_u32_e64 s0, 3, v3
	v_lshrrev_b32_e32 v20, 2, v23
	v_mul_f16_e32 v3, v29, v15
	v_add_nc_u32_e32 v23, 0xfffffc10, v30
	v_cmp_ne_u32_e64 s1, v19, v24
	s_or_b32 vcc_lo, s0, vcc_lo
	v_and_or_b32 v21, 0x1ff, v22, v21
	s_wait_alu 0xfffe
	v_add_co_ci_u32_e32 v24, vcc_lo, 0, v20, vcc_lo
	v_cndmask_b32_e64 v19, 0, 1, s1
	v_fmac_f16_e64 v3, v182, v7
	v_cmp_ne_u32_e32 vcc_lo, 0, v13
	v_lshl_or_b32 v27, v23, 12, v25
	v_mul_f16_e32 v7, v29, v7
	v_or_b32_e32 v5, v5, v19
	v_cvt_f32_f16_e32 v3, v3
	s_wait_alu 0xfffd
	v_cndmask_b32_e64 v13, 0, 1, vcc_lo
	v_cmp_gt_i32_e32 vcc_lo, 1, v23
	v_fma_f16 v7, v182, v15, -v7
	global_store_b32 v[17:18], v1, off
	v_cvt_f64_f32_e32 v[19:20], v3
	v_lshl_or_b32 v13, v13, 9, 0x7c00
	s_wait_alu 0xfffd
	v_cndmask_b32_e32 v3, v27, v5, vcc_lo
	v_cmp_ne_u32_e32 vcc_lo, 0, v21
	v_lshrrev_b32_e32 v21, 8, v22
	v_bfe_u32 v27, v22, 20, 11
	v_cvt_f32_f16_e32 v7, v7
	v_and_b32_e32 v28, 7, v3
	s_wait_alu 0xfffd
	v_cndmask_b32_e64 v5, 0, 1, vcc_lo
	v_cmp_gt_i32_e32 vcc_lo, 31, v26
	v_lshrrev_b32_e32 v3, 2, v3
	v_lshrrev_b32_e32 v22, 16, v22
	v_cmp_eq_u32_e64 s0, 3, v28
	v_and_or_b32 v5, 0xffe, v21, v5
	s_wait_alu 0xfffd
	v_cndmask_b32_e32 v24, 0x7c00, v24, vcc_lo
	v_sub_nc_u32_e32 v21, 0x3f1, v27
	v_cmp_eq_u32_e32 vcc_lo, 0x40f, v26
	v_and_or_b32 v9, 0x1ff, v10, v9
	v_lshrrev_b32_e32 v26, 16, v14
	v_lshrrev_b32_e32 v15, 8, v10
	v_med3_i32 v21, v21, 0, 13
	s_wait_alu 0xfffd
	v_cndmask_b32_e32 v24, v24, v13, vcc_lo
	v_or_b32_e32 v13, 0x1000, v5
	v_cmp_lt_i32_e32 vcc_lo, 5, v28
	v_add_nc_u32_e32 v27, 0xfffffc10, v27
	s_delay_alu instid0(VALU_DEP_4) | instskip(NEXT) | instid1(VALU_DEP_4)
	v_and_or_b32 v1, 0x8000, v26, v24
	v_lshrrev_b32_e32 v28, v21, v13
	s_or_b32 vcc_lo, s0, vcc_lo
	v_lshrrev_b32_e32 v24, 16, v6
	s_wait_alu 0xfffe
	v_add_co_ci_u32_e32 v3, vcc_lo, 0, v3, vcc_lo
	v_lshlrev_b32_e32 v14, v21, v28
	v_cmp_ne_u32_e32 vcc_lo, 0, v9
	v_bfe_u32 v21, v10, 20, 11
	v_and_b32_e32 v1, 0xffff, v1
	s_wait_alu 0xfffd
	v_cndmask_b32_e64 v9, 0, 1, vcc_lo
	v_cmp_ne_u32_e32 vcc_lo, v14, v13
	v_mul_f64_e32 v[13:14], s[8:9], v[19:20]
	v_cvt_f64_f32_e32 v[19:20], v7
	s_delay_alu instid0(VALU_DEP_4)
	v_and_or_b32 v9, 0xffe, v15, v9
	s_wait_alu 0xfffd
	v_cndmask_b32_e64 v29, 0, 1, vcc_lo
	v_cmp_ne_u32_e32 vcc_lo, 0, v25
	v_sub_nc_u32_e32 v15, 0x3f1, v21
	v_add_nc_u32_e32 v21, 0xfffffc10, v21
	s_delay_alu instid0(VALU_DEP_4)
	v_or_b32_e32 v25, v28, v29
	s_wait_alu 0xfffd
	v_cndmask_b32_e64 v7, 0, 1, vcc_lo
	v_cmp_gt_i32_e32 vcc_lo, 31, v23
	v_lshl_or_b32 v28, v27, 12, v5
	v_or_b32_e32 v29, 0x1000, v9
	v_med3_i32 v15, v15, 0, 13
	v_lshl_or_b32 v7, v7, 9, 0x7c00
	s_wait_alu 0xfffd
	v_cndmask_b32_e32 v3, 0x7c00, v3, vcc_lo
	v_cmp_gt_i32_e32 vcc_lo, 1, v27
	s_wait_alu 0xfffd
	v_cndmask_b32_e32 v25, v28, v25, vcc_lo
	v_lshrrev_b32_e32 v28, v15, v29
	v_cmp_eq_u32_e32 vcc_lo, 0x40f, v23
	s_delay_alu instid0(VALU_DEP_2)
	v_lshlrev_b32_e32 v15, v15, v28
	s_wait_alu 0xfffd
	v_cndmask_b32_e32 v3, v3, v7, vcc_lo
	v_lshrrev_b32_e32 v7, 16, v16
	v_and_b32_e32 v16, 7, v25
	v_cmp_ne_u32_e64 s0, v15, v29
	v_lshrrev_b32_e32 v15, 2, v25
	s_delay_alu instid0(VALU_DEP_4) | instskip(NEXT) | instid1(VALU_DEP_4)
	v_and_or_b32 v3, 0x8000, v7, v3
	v_cmp_lt_i32_e32 vcc_lo, 5, v16
	v_lshrrev_b32_e32 v29, 16, v177
	s_wait_alu 0xf1ff
	v_cndmask_b32_e64 v7, 0, 1, s0
	v_cmp_eq_u32_e64 s0, 3, v16
	v_lshl_or_b32 v16, v21, 12, v9
	v_and_or_b32 v13, 0x1ff, v14, v13
	v_lshrrev_b32_e32 v25, 8, v14
	v_or_b32_e32 v7, v28, v7
	s_or_b32 vcc_lo, s0, vcc_lo
	v_lshrrev_b32_e32 v28, 16, v179
	s_wait_alu 0xfffe
	v_add_co_ci_u32_e32 v23, vcc_lo, 0, v15, vcc_lo
	v_cmp_ne_u32_e32 vcc_lo, 0, v5
	v_bfe_u32 v26, v14, 20, 11
	v_lshl_or_b32 v1, v3, 16, v1
	s_wait_alu 0xfffd
	v_cndmask_b32_e64 v5, 0, 1, vcc_lo
	v_cmp_gt_i32_e32 vcc_lo, 1, v21
	s_delay_alu instid0(VALU_DEP_2)
	v_lshl_or_b32 v5, v5, 9, 0x7c00
	s_wait_alu 0xfffd
	v_cndmask_b32_e32 v7, v16, v7, vcc_lo
	v_cmp_gt_i32_e32 vcc_lo, 31, v27
	v_mul_f64_e32 v[15:16], s[8:9], v[19:20]
	v_mul_f16_e32 v20, v28, v24
	s_wait_alu 0xfffd
	v_cndmask_b32_e32 v19, 0x7c00, v23, vcc_lo
	v_cmp_ne_u32_e32 vcc_lo, 0, v13
	s_delay_alu instid0(VALU_DEP_3)
	v_fmac_f16_e64 v20, v179, v6
	v_and_b32_e32 v23, 7, v7
	v_lshrrev_b32_e32 v7, 2, v7
	v_mul_f16_e32 v6, v28, v6
	s_wait_alu 0xfffd
	v_cndmask_b32_e64 v13, 0, 1, vcc_lo
	v_cmp_eq_u32_e32 vcc_lo, 0x40f, v27
	v_cmp_eq_u32_e64 s0, 3, v23
	v_fma_f16 v6, v179, v24, -v6
	s_delay_alu instid0(VALU_DEP_4)
	v_and_or_b32 v13, 0xffe, v25, v13
	s_wait_alu 0xfffd
	v_cndmask_b32_e32 v5, v19, v5, vcc_lo
	v_cvt_f32_f16_e32 v19, v20
	v_cmp_lt_i32_e32 vcc_lo, 5, v23
	v_sub_nc_u32_e32 v25, 0x3f1, v26
	v_or_b32_e32 v23, 0x1000, v13
	v_and_or_b32 v3, 0x8000, v22, v5
	v_cvt_f64_f32_e32 v[19:20], v19
	s_or_b32 vcc_lo, s0, vcc_lo
	v_med3_i32 v25, v25, 0, 13
	s_wait_alu 0xfffe
	v_add_co_ci_u32_e32 v7, vcc_lo, 0, v7, vcc_lo
	v_cmp_ne_u32_e32 vcc_lo, 0, v9
	v_cvt_f32_f16_e32 v6, v6
	v_lshrrev_b32_e32 v27, v25, v23
	v_and_b32_e32 v3, 0xffff, v3
	s_wait_alu 0xfffd
	v_cndmask_b32_e64 v9, 0, 1, vcc_lo
	v_cmp_gt_i32_e32 vcc_lo, 31, v21
	v_lshlrev_b32_e32 v5, v25, v27
	s_delay_alu instid0(VALU_DEP_3)
	v_lshl_or_b32 v9, v9, 9, 0x7c00
	s_wait_alu 0xfffd
	v_cndmask_b32_e32 v7, 0x7c00, v7, vcc_lo
	v_cmp_eq_u32_e32 vcc_lo, 0x40f, v21
	v_lshrrev_b32_e32 v21, 16, v10
	v_lshrrev_b32_e32 v10, 8, v16
	v_bfe_u32 v22, v16, 20, 11
	s_wait_alu 0xfffd
	v_cndmask_b32_e32 v7, v7, v9, vcc_lo
	v_and_or_b32 v9, 0x1ff, v16, v15
	v_cmp_ne_u32_e32 vcc_lo, v5, v23
	v_add_nc_u32_e32 v15, 0xfffffc10, v26
	v_sub_nc_u32_e32 v25, 0x3f1, v22
	v_and_or_b32 v21, 0x8000, v21, v7
	v_lshrrev_b32_e32 v16, 16, v16
	s_wait_alu 0xfffd
	v_cndmask_b32_e64 v5, 0, 1, vcc_lo
	v_cmp_ne_u32_e32 vcc_lo, 0, v9
	v_lshl_or_b32 v23, v15, 12, v13
	v_med3_i32 v25, v25, 0, 13
	v_lshl_or_b32 v3, v21, 16, v3
	v_or_b32_e32 v5, v27, v5
	s_wait_alu 0xfffd
	v_cndmask_b32_e64 v9, 0, 1, vcc_lo
	v_cmp_gt_i32_e32 vcc_lo, 1, v15
	v_mul_f64_e32 v[19:20], s[8:9], v[19:20]
	s_delay_alu instid0(VALU_DEP_3)
	v_and_or_b32 v24, 0xffe, v10, v9
	v_cvt_f64_f32_e32 v[9:10], v6
	s_wait_alu 0xfffd
	v_cndmask_b32_e32 v5, v23, v5, vcc_lo
	ds_load_2addr_b32 v[6:7], v139 offset0:110 offset1:165
	v_add_co_u32 v17, vcc_lo, v17, s2
	v_or_b32_e32 v23, 0x1000, v24
	v_and_b32_e32 v26, 7, v5
	s_wait_alu 0xfffd
	v_add_co_ci_u32_e32 v18, vcc_lo, s3, v18, vcc_lo
	v_lshrrev_b32_e32 v5, 2, v5
	v_lshrrev_b32_e32 v27, v25, v23
	v_cmp_lt_i32_e32 vcc_lo, 5, v26
	v_cmp_eq_u32_e64 s0, 3, v26
	s_delay_alu instid0(VALU_DEP_3) | instskip(NEXT) | instid1(VALU_DEP_2)
	v_lshlrev_b32_e32 v25, v25, v27
	s_or_b32 vcc_lo, s0, vcc_lo
	s_wait_alu 0xfffe
	v_add_co_ci_u32_e32 v5, vcc_lo, 0, v5, vcc_lo
	s_delay_alu instid0(VALU_DEP_2)
	v_cmp_ne_u32_e64 s1, v25, v23
	v_add_nc_u32_e32 v23, 0xfffffc10, v22
	s_wait_dscnt 0x0
	v_lshrrev_b32_e32 v25, 16, v6
	v_cmp_ne_u32_e32 vcc_lo, 0, v13
	s_wait_alu 0xf1ff
	v_cndmask_b32_e64 v21, 0, 1, s1
	v_lshl_or_b32 v22, v23, 12, v24
	s_wait_alu 0xfffd
	v_cndmask_b32_e64 v13, 0, 1, vcc_lo
	v_cmp_gt_i32_e32 vcc_lo, 1, v23
	v_or_b32_e32 v21, v27, v21
	v_mul_f16_e32 v27, v29, v25
	s_delay_alu instid0(VALU_DEP_4) | instskip(SKIP_1) | instid1(VALU_DEP_3)
	v_lshl_or_b32 v13, v13, 9, 0x7c00
	s_wait_alu 0xfffd
	v_cndmask_b32_e32 v26, v22, v21, vcc_lo
	v_cmp_gt_i32_e32 vcc_lo, 31, v15
	v_fmac_f16_e64 v27, v177, v6
	v_mul_f64_e32 v[21:22], s[8:9], v[9:10]
	v_and_or_b32 v9, 0x1ff, v20, v19
	s_wait_alu 0xfffd
	v_dual_cndmask_b32 v5, 0x7c00, v5 :: v_dual_and_b32 v28, 7, v26
	v_cmp_eq_u32_e32 vcc_lo, 0x40f, v15
	v_cvt_f32_f16_e32 v10, v27
	v_cmp_ne_u32_e64 s1, 0, v9
	s_delay_alu instid0(VALU_DEP_4)
	v_cmp_eq_u32_e64 s0, 3, v28
	v_lshrrev_b32_e32 v19, 8, v20
	s_wait_alu 0xfffd
	v_cndmask_b32_e32 v5, v5, v13, vcc_lo
	v_cmp_lt_i32_e32 vcc_lo, 5, v28
	v_cvt_f64_f32_e32 v[9:10], v10
	v_lshrrev_b32_e32 v13, 2, v26
	s_wait_alu 0xf1ff
	v_cndmask_b32_e64 v15, 0, 1, s1
	v_bfe_u32 v26, v20, 20, 11
	s_or_b32 vcc_lo, s0, vcc_lo
	v_lshrrev_b32_e32 v28, 16, v14
	s_wait_alu 0xfffe
	v_add_co_ci_u32_e32 v13, vcc_lo, 0, v13, vcc_lo
	v_cmp_ne_u32_e32 vcc_lo, 0, v24
	v_and_or_b32 v15, 0xffe, v19, v15
	v_sub_nc_u32_e32 v19, 0x3f1, v26
	v_and_or_b32 v28, 0x8000, v28, v5
	v_mul_f16_e32 v5, v29, v6
	s_wait_alu 0xfffd
	v_cndmask_b32_e64 v24, 0, 1, vcc_lo
	v_cmp_gt_i32_e32 vcc_lo, 31, v23
	v_or_b32_e32 v27, 0x1000, v15
	v_med3_i32 v19, v19, 0, 13
	v_fma_f16 v5, v177, v25, -v5
	v_lshl_or_b32 v24, v24, 9, 0x7c00
	s_wait_alu 0xfffd
	v_cndmask_b32_e32 v13, 0x7c00, v13, vcc_lo
	v_cmp_eq_u32_e32 vcc_lo, 0x40f, v23
	v_lshrrev_b32_e32 v20, 16, v20
	s_wait_alu 0xfffd
	s_delay_alu instid0(VALU_DEP_3) | instskip(SKIP_4) | instid1(VALU_DEP_3)
	v_cndmask_b32_e32 v23, v13, v24, vcc_lo
	v_lshrrev_b32_e32 v24, v19, v27
	v_add_co_u32 v13, vcc_lo, v17, s2
	s_wait_alu 0xfffd
	v_add_co_ci_u32_e32 v14, vcc_lo, s3, v18, vcc_lo
	v_lshlrev_b32_e32 v19, v19, v24
	global_store_b32 v[17:18], v1, off
	global_store_b32 v[13:14], v3, off
	v_and_or_b32 v6, 0x1ff, v22, v21
	v_add_nc_u32_e32 v21, 0xfffffc10, v26
	v_cmp_ne_u32_e32 vcc_lo, v19, v27
	v_cvt_f32_f16_e32 v26, v5
	s_clause 0x2
	scratch_load_b32 v29, off, off offset:156 th:TH_LOAD_LU
	scratch_load_b32 v31, off, off offset:152 th:TH_LOAD_LU
	scratch_load_b32 v30, off, off offset:136 th:TH_LOAD_LU
	s_wait_alu 0xfffd
	v_cndmask_b32_e64 v19, 0, 1, vcc_lo
	v_cmp_ne_u32_e32 vcc_lo, 0, v6
	v_mul_f64_e32 v[5:6], s[8:9], v[9:10]
	v_cvt_f64_f32_e32 v[9:10], v26
	v_and_b32_e32 v26, 0xffff, v28
	scratch_load_b32 v28, off, off offset:140 th:TH_LOAD_LU ; 4-byte Folded Reload
	v_and_or_b32 v16, 0x8000, v16, v23
	s_wait_alu 0xfffd
	v_cndmask_b32_e64 v23, 0, 1, vcc_lo
	v_lshrrev_b32_e32 v25, 8, v22
	v_bfe_u32 v27, v22, 20, 11
	v_or_b32_e32 v19, v24, v19
	v_lshl_or_b32 v24, v21, 12, v15
	v_cmp_gt_i32_e32 vcc_lo, 1, v21
	v_and_or_b32 v23, 0xffe, v25, v23
	v_sub_nc_u32_e32 v25, 0x3f1, v27
	v_lshl_or_b32 v1, v16, 16, v26
	v_lshrrev_b32_e32 v18, 16, v12
	s_wait_alu 0xfffd
	v_cndmask_b32_e32 v19, v24, v19, vcc_lo
	v_or_b32_e32 v24, 0x1000, v23
	v_med3_i32 v25, v25, 0, 13
	v_add_co_u32 v13, vcc_lo, v13, s2
	s_delay_alu instid0(VALU_DEP_4)
	v_and_b32_e32 v3, 7, v19
	s_wait_alu 0xfffd
	v_add_co_ci_u32_e32 v14, vcc_lo, s3, v14, vcc_lo
	v_lshrrev_b32_e32 v16, v25, v24
	v_lshrrev_b32_e32 v22, 16, v22
	v_cmp_lt_i32_e32 vcc_lo, 5, v3
	v_cmp_eq_u32_e64 s0, 3, v3
	v_lshrrev_b32_e32 v3, 2, v19
	v_lshlrev_b32_e32 v17, v25, v16
	global_store_b32 v[13:14], v1, off
	s_or_b32 vcc_lo, s0, vcc_lo
	v_cmp_ne_u32_e64 s1, v17, v24
	s_wait_alu 0xfffe
	v_add_co_ci_u32_e32 v3, vcc_lo, 0, v3, vcc_lo
	v_add_nc_u32_e32 v24, 0xfffffc10, v27
	v_cmp_ne_u32_e32 vcc_lo, 0, v15
	s_wait_alu 0xf1ff
	v_cndmask_b32_e64 v17, 0, 1, s1
	v_and_or_b32 v5, 0x1ff, v6, v5
	v_bfe_u32 v26, v6, 20, 11
	s_wait_alu 0xfffd
	v_cndmask_b32_e64 v25, 0, 1, vcc_lo
	v_or_b32_e32 v16, v16, v17
	v_lshl_or_b32 v17, v24, 12, v23
	v_cmp_gt_i32_e32 vcc_lo, 1, v24
	s_delay_alu instid0(VALU_DEP_4) | instskip(SKIP_1) | instid1(VALU_DEP_3)
	v_lshl_or_b32 v25, v25, 9, 0x7c00
	s_wait_alu 0xfffd
	v_cndmask_b32_e32 v17, v17, v16, vcc_lo
	v_mul_f64_e32 v[15:16], s[8:9], v[9:10]
	v_cmp_ne_u32_e32 vcc_lo, 0, v5
	s_delay_alu instid0(VALU_DEP_3)
	v_and_b32_e32 v27, 7, v17
	v_lshrrev_b32_e32 v17, 2, v17
	s_wait_alu 0xfffd
	v_cndmask_b32_e64 v5, 0, 1, vcc_lo
	v_cmp_gt_i32_e32 vcc_lo, 31, v21
	v_cmp_eq_u32_e64 s0, 3, v27
	s_wait_alu 0xfffd
	v_cndmask_b32_e32 v3, 0x7c00, v3, vcc_lo
	v_cmp_eq_u32_e32 vcc_lo, 0x40f, v21
	s_wait_alu 0xfffd
	s_delay_alu instid0(VALU_DEP_2) | instskip(SKIP_1) | instid1(VALU_DEP_2)
	v_cndmask_b32_e32 v3, v3, v25, vcc_lo
	v_cmp_lt_i32_e32 vcc_lo, 5, v27
	v_and_or_b32 v3, 0x8000, v20, v3
	s_or_b32 vcc_lo, s0, vcc_lo
	s_wait_alu 0xfffe
	v_add_co_ci_u32_e32 v17, vcc_lo, 0, v17, vcc_lo
	v_cmp_ne_u32_e32 vcc_lo, 0, v23
	v_and_b32_e32 v3, 0xffff, v3
	s_wait_loadcnt 0x3
	v_mul_f16_e32 v19, v29, v18
	s_wait_loadcnt 0x0
	s_delay_alu instid0(VALU_DEP_1) | instskip(SKIP_1) | instid1(VALU_DEP_2)
	v_fmac_f16_e32 v19, v28, v12
	v_mul_f16_e32 v12, v29, v12
	v_cvt_f32_f16_e32 v19, v19
	s_delay_alu instid0(VALU_DEP_2)
	v_fma_f16 v12, v28, v18, -v12
	s_wait_alu 0xfffd
	v_cndmask_b32_e64 v18, 0, 1, vcc_lo
	v_cmp_gt_i32_e32 vcc_lo, 31, v24
	v_cvt_f64_f32_e32 v[9:10], v19
	v_lshrrev_b32_e32 v19, 8, v6
	v_cvt_f32_f16_e32 v12, v12
	s_wait_alu 0xfffd
	v_cndmask_b32_e32 v23, 0x7c00, v17, vcc_lo
	v_lshl_or_b32 v27, v18, 9, 0x7c00
	v_and_or_b32 v5, 0xffe, v19, v5
	v_sub_nc_u32_e32 v19, 0x3f1, v26
	v_cvt_f64_f32_e32 v[17:18], v12
	v_and_or_b32 v12, 0x1ff, v16, v15
	v_add_nc_u32_e32 v26, 0xfffffc10, v26
	v_or_b32_e32 v21, 0x1000, v5
	v_med3_i32 v19, v19, 0, 13
	s_delay_alu instid0(VALU_DEP_1) | instskip(NEXT) | instid1(VALU_DEP_1)
	v_lshrrev_b32_e32 v25, v19, v21
	v_lshlrev_b32_e32 v19, v19, v25
	s_delay_alu instid0(VALU_DEP_1) | instskip(SKIP_4) | instid1(VALU_DEP_3)
	v_cmp_ne_u32_e32 vcc_lo, v19, v21
	s_wait_alu 0xfffd
	v_cndmask_b32_e64 v21, 0, 1, vcc_lo
	v_cmp_eq_u32_e32 vcc_lo, 0x40f, v24
	v_lshrrev_b32_e32 v24, 8, v16
	v_or_b32_e32 v21, v25, v21
	v_mul_f64_e32 v[19:20], s[8:9], v[9:10]
	s_wait_alu 0xfffd
	v_cndmask_b32_e32 v15, v23, v27, vcc_lo
	v_cmp_ne_u32_e32 vcc_lo, 0, v12
	v_lshl_or_b32 v23, v26, 12, v5
	ds_load_2addr_b32 v[9:10], v49 offset0:148 offset1:203
	v_bfe_u32 v25, v16, 20, 11
	v_and_or_b32 v15, 0x8000, v22, v15
	s_wait_alu 0xfffd
	v_cndmask_b32_e64 v12, 0, 1, vcc_lo
	v_cmp_gt_i32_e32 vcc_lo, 1, v26
	v_lshrrev_b32_e32 v16, 16, v16
	v_lshl_or_b32 v1, v15, 16, v3
	s_wait_alu 0xfffd
	v_cndmask_b32_e32 v21, v23, v21, vcc_lo
	v_and_or_b32 v23, 0xffe, v24, v12
	v_sub_nc_u32_e32 v12, 0x3f1, v25
	s_delay_alu instid0(VALU_DEP_3) | instskip(NEXT) | instid1(VALU_DEP_3)
	v_and_b32_e32 v22, 7, v21
	v_or_b32_e32 v24, 0x1000, v23
	s_delay_alu instid0(VALU_DEP_3) | instskip(SKIP_1) | instid1(VALU_DEP_4)
	v_med3_i32 v27, v12, 0, 13
	v_add_co_u32 v12, s1, v13, s2
	v_cmp_lt_i32_e32 vcc_lo, 5, v22
	v_cmp_eq_u32_e64 s0, 3, v22
	s_delay_alu instid0(VALU_DEP_4)
	v_lshrrev_b32_e32 v3, v27, v24
	s_wait_alu 0xf1ff
	v_add_co_ci_u32_e64 v13, s1, s3, v14, s1
	v_lshrrev_b32_e32 v14, 2, v21
	s_or_b32 vcc_lo, s0, vcc_lo
	s_wait_dscnt 0x0
	v_lshrrev_b32_e32 v22, 16, v9
	v_lshlrev_b32_e32 v21, v27, v3
	global_store_b32 v[12:13], v1, off
	s_wait_alu 0xfffe
	v_add_co_ci_u32_e32 v28, vcc_lo, 0, v14, vcc_lo
	v_mul_f64_e32 v[14:15], s[8:9], v[17:18]
	v_mul_f16_e32 v27, v31, v22
	v_cmp_ne_u32_e32 vcc_lo, v21, v24
	v_and_or_b32 v17, 0x1ff, v20, v19
	v_add_nc_u32_e32 v19, 0xfffffc10, v25
	v_lshrrev_b32_e32 v25, 8, v20
	v_fmac_f16_e32 v27, v30, v9
	s_wait_alu 0xfffd
	v_cndmask_b32_e64 v18, 0, 1, vcc_lo
	v_cmp_ne_u32_e32 vcc_lo, 0, v17
	s_delay_alu instid0(VALU_DEP_3)
	v_cvt_f32_f16_e32 v21, v27
	v_bfe_u32 v27, v20, 20, 11
	s_wait_alu 0xfffd
	v_cndmask_b32_e64 v24, 0, 1, vcc_lo
	v_cmp_ne_u32_e32 vcc_lo, 0, v5
	v_or_b32_e32 v3, v3, v18
	v_cvt_f64_f32_e32 v[17:18], v21
	v_lshl_or_b32 v21, v19, 12, v23
	v_and_or_b32 v24, 0xffe, v25, v24
	s_wait_alu 0xfffd
	v_cndmask_b32_e64 v5, 0, 1, vcc_lo
	v_cmp_gt_i32_e32 vcc_lo, 1, v19
	v_sub_nc_u32_e32 v25, 0x3f1, v27
	s_delay_alu instid0(VALU_DEP_3)
	v_lshl_or_b32 v5, v5, 9, 0x7c00
	s_wait_alu 0xfffd
	v_cndmask_b32_e32 v3, v21, v3, vcc_lo
	v_cmp_gt_i32_e32 vcc_lo, 31, v26
	v_or_b32_e32 v21, 0x1000, v24
	v_med3_i32 v25, v25, 0, 13
	s_wait_alu 0xfffd
	v_dual_cndmask_b32 v28, 0x7c00, v28 :: v_dual_and_b32 v29, 7, v3
	v_cmp_eq_u32_e32 vcc_lo, 0x40f, v26
	s_delay_alu instid0(VALU_DEP_3) | instskip(SKIP_1) | instid1(VALU_DEP_4)
	v_lshrrev_b32_e32 v1, v25, v21
	v_lshrrev_b32_e32 v3, 2, v3
	v_cmp_eq_u32_e64 s0, 3, v29
	s_wait_alu 0xfffd
	v_cndmask_b32_e32 v26, v28, v5, vcc_lo
	v_cmp_lt_i32_e32 vcc_lo, 5, v29
	v_lshlrev_b32_e32 v5, v25, v1
	v_and_or_b32 v14, 0x1ff, v15, v14
	v_lshrrev_b32_e32 v28, 16, v6
	v_mul_f16_e32 v6, v31, v9
	s_or_b32 vcc_lo, s0, vcc_lo
	v_cmp_ne_u32_e64 s1, v5, v21
	s_wait_alu 0xfffe
	v_add_co_ci_u32_e32 v3, vcc_lo, 0, v3, vcc_lo
	v_cmp_ne_u32_e32 vcc_lo, 0, v14
	v_add_nc_u32_e32 v9, 0xfffffc10, v27
	s_wait_alu 0xf1ff
	v_cndmask_b32_e64 v5, 0, 1, s1
	v_fma_f16 v6, v30, v22, -v6
	v_lshrrev_b32_e32 v22, 8, v15
	s_wait_alu 0xfffd
	v_cndmask_b32_e64 v14, 0, 1, vcc_lo
	v_cmp_ne_u32_e32 vcc_lo, 0, v23
	v_or_b32_e32 v1, v1, v5
	v_lshl_or_b32 v21, v9, 12, v24
	scratch_load_b32 v29, off, off offset:148 th:TH_LOAD_LU ; 4-byte Folded Reload
	v_and_or_b32 v14, 0xffe, v22, v14
	s_wait_alu 0xfffd
	v_cndmask_b32_e64 v23, 0, 1, vcc_lo
	v_cmp_gt_i32_e32 vcc_lo, 1, v9
	v_bfe_u32 v25, v15, 20, 11
	v_cvt_f32_f16_e32 v5, v6
	v_mul_f64_e32 v[17:18], s[8:9], v[17:18]
	v_lshl_or_b32 v22, v23, 9, 0x7c00
	s_wait_alu 0xfffd
	v_cndmask_b32_e32 v1, v21, v1, vcc_lo
	v_cmp_gt_i32_e32 vcc_lo, 31, v19
	v_sub_nc_u32_e32 v21, 0x3f1, v25
	v_cvt_f64_f32_e32 v[5:6], v5
	v_or_b32_e32 v23, 0x1000, v14
	v_and_b32_e32 v27, 7, v1
	s_wait_alu 0xfffd
	v_cndmask_b32_e32 v3, 0x7c00, v3, vcc_lo
	v_cmp_eq_u32_e32 vcc_lo, 0x40f, v19
	v_med3_i32 v21, v21, 0, 13
	v_lshrrev_b32_e32 v1, 2, v1
	v_cmp_eq_u32_e64 s0, 3, v27
	scratch_load_b32 v31, off, off offset:144 th:TH_LOAD_LU ; 4-byte Folded Reload
	s_wait_alu 0xfffd
	v_cndmask_b32_e32 v3, v3, v22, vcc_lo
	v_and_or_b32 v22, 0x8000, v28, v26
	scratch_load_b32 v28, off, off offset:128 th:TH_LOAD_LU ; 4-byte Folded Reload
	v_lshrrev_b32_e32 v19, v21, v23
	v_cmp_lt_i32_e32 vcc_lo, 5, v27
	v_and_or_b32 v3, 0x8000, v16, v3
	s_delay_alu instid0(VALU_DEP_3) | instskip(SKIP_3) | instid1(VALU_DEP_2)
	v_lshlrev_b32_e32 v21, v21, v19
	s_or_b32 vcc_lo, s0, vcc_lo
	s_wait_alu 0xfffe
	v_add_co_ci_u32_e32 v1, vcc_lo, 0, v1, vcc_lo
	v_cmp_ne_u32_e32 vcc_lo, v21, v23
	v_add_nc_u32_e32 v23, 0xfffffc10, v25
	v_and_b32_e32 v21, 0xffff, v22
	s_wait_alu 0xfffd
	v_cndmask_b32_e64 v16, 0, 1, vcc_lo
	v_cmp_gt_i32_e32 vcc_lo, 31, v9
	s_delay_alu instid0(VALU_DEP_3) | instskip(NEXT) | instid1(VALU_DEP_3)
	v_lshl_or_b32 v3, v3, 16, v21
	v_or_b32_e32 v16, v19, v16
	s_wait_alu 0xfffd
	v_cndmask_b32_e32 v1, 0x7c00, v1, vcc_lo
	v_cmp_ne_u32_e32 vcc_lo, 0, v24
	v_lshl_or_b32 v19, v23, 12, v14
	v_and_or_b32 v24, 0x1ff, v18, v17
	v_bfe_u32 v25, v18, 20, 11
	s_wait_alu 0xfffd
	v_cndmask_b32_e64 v22, 0, 1, vcc_lo
	v_cmp_gt_i32_e32 vcc_lo, 1, v23
	s_delay_alu instid0(VALU_DEP_2)
	v_lshl_or_b32 v22, v22, 9, 0x7c00
	s_wait_alu 0xfffd
	v_cndmask_b32_e32 v19, v19, v16, vcc_lo
	v_mul_f64_e32 v[16:17], s[8:9], v[5:6]
	v_lshrrev_b32_e32 v5, 16, v11
	v_cmp_ne_u32_e32 vcc_lo, 0, v24
	v_lshrrev_b32_e32 v24, 8, v18
	v_and_b32_e32 v27, 7, v19
	s_wait_alu 0xfffd
	v_cndmask_b32_e64 v6, 0, 1, vcc_lo
	v_cmp_eq_u32_e32 vcc_lo, 0x40f, v9
	s_delay_alu instid0(VALU_DEP_3) | instskip(NEXT) | instid1(VALU_DEP_3)
	v_cmp_eq_u32_e64 s0, 3, v27
	v_and_or_b32 v24, 0xffe, v24, v6
	v_sub_nc_u32_e32 v6, 0x3f1, v25
	s_wait_alu 0xfffd
	v_cndmask_b32_e32 v1, v1, v22, vcc_lo
	v_cmp_lt_i32_e32 vcc_lo, 5, v27
	v_lshrrev_b32_e32 v27, 2, v19
	v_or_b32_e32 v9, 0x1000, v24
	v_med3_i32 v6, v6, 0, 13
	s_or_b32 vcc_lo, s0, vcc_lo
	s_wait_alu 0xfffe
	v_add_co_ci_u32_e32 v27, vcc_lo, 0, v27, vcc_lo
	v_cmp_gt_i32_e32 vcc_lo, 31, v23
	s_wait_loadcnt 0x2
	v_mul_f16_e32 v26, v29, v5
	s_wait_loadcnt 0x0
	s_delay_alu instid0(VALU_DEP_1) | instskip(SKIP_1) | instid1(VALU_DEP_2)
	v_fmac_f16_e32 v26, v28, v11
	v_mul_f16_e32 v11, v29, v11
	v_cvt_f32_f16_e32 v22, v26
	v_lshrrev_b32_e32 v26, 16, v20
	s_delay_alu instid0(VALU_DEP_3)
	v_fma_f16 v5, v28, v5, -v11
	v_and_or_b32 v11, 0x1ff, v17, v16
	v_bfe_u32 v28, v17, 20, 11
	v_cvt_f64_f32_e32 v[19:20], v22
	v_lshrrev_b32_e32 v22, v6, v9
	v_and_or_b32 v1, 0x8000, v26, v1
	s_wait_alu 0xfffd
	v_cndmask_b32_e32 v26, 0x7c00, v27, vcc_lo
	v_cmp_ne_u32_e32 vcc_lo, 0, v14
	v_lshrrev_b32_e32 v27, 8, v17
	v_lshlrev_b32_e32 v6, v6, v22
	v_and_b32_e32 v1, 0xffff, v1
	v_cvt_f32_f16_e32 v5, v5
	s_wait_alu 0xfffd
	v_cndmask_b32_e64 v14, 0, 1, vcc_lo
	v_lshrrev_b32_e32 v17, 16, v17
	v_cmp_ne_u32_e32 vcc_lo, v6, v9
	v_add_nc_u32_e32 v9, 0xfffffc10, v25
	s_delay_alu instid0(VALU_DEP_4) | instskip(SKIP_4) | instid1(VALU_DEP_3)
	v_lshl_or_b32 v14, v14, 9, 0x7c00
	s_wait_alu 0xfffd
	v_cndmask_b32_e64 v6, 0, 1, vcc_lo
	v_cmp_ne_u32_e32 vcc_lo, 0, v11
	v_lshl_or_b32 v25, v9, 12, v24
	v_or_b32_e32 v16, v22, v6
	s_wait_alu 0xfffd
	v_cndmask_b32_e64 v11, 0, 1, vcc_lo
	v_cmp_gt_i32_e32 vcc_lo, 1, v9
	v_cvt_f64_f32_e32 v[21:22], v5
	ds_load_2addr_b32 v[5:6], v48 offset0:186 offset1:241
	s_wait_alu 0xfffd
	v_cndmask_b32_e32 v16, v25, v16, vcc_lo
	v_and_or_b32 v25, 0xffe, v27, v11
	v_sub_nc_u32_e32 v11, 0x3f1, v28
	v_cmp_eq_u32_e32 vcc_lo, 0x40f, v23
	s_delay_alu instid0(VALU_DEP_4) | instskip(NEXT) | instid1(VALU_DEP_4)
	v_and_b32_e32 v27, 7, v16
	v_or_b32_e32 v29, 0x1000, v25
	s_delay_alu instid0(VALU_DEP_4)
	v_med3_i32 v30, v11, 0, 13
	s_wait_alu 0xfffd
	v_cndmask_b32_e32 v23, v26, v14, vcc_lo
	v_lshrrev_b32_e32 v26, 16, v15
	v_add_co_u32 v11, vcc_lo, v12, s4
	v_mul_f64_e32 v[14:15], s[8:9], v[19:20]
	s_wait_alu 0xfffd
	v_add_co_ci_u32_e32 v12, vcc_lo, s5, v13, vcc_lo
	v_and_or_b32 v13, 0x8000, v26, v23
	v_lshrrev_b32_e32 v19, v30, v29
	v_cmp_lt_i32_e32 vcc_lo, 5, v27
	v_cmp_eq_u32_e64 s0, 3, v27
	s_wait_dscnt 0x0
	v_lshrrev_b32_e32 v26, 16, v5
	v_lshl_or_b32 v1, v13, 16, v1
	v_lshrrev_b32_e32 v13, 2, v16
	v_lshlrev_b32_e32 v16, v30, v19
	scratch_load_b32 v30, off, off offset:120 th:TH_LOAD_LU ; 4-byte Folded Reload
	s_or_b32 vcc_lo, s0, vcc_lo
	v_mul_f16_e32 v23, v31, v26
	s_wait_alu 0xfffe
	v_add_co_ci_u32_e32 v13, vcc_lo, 0, v13, vcc_lo
	v_cmp_ne_u32_e32 vcc_lo, v16, v29
	v_add_nc_u32_e32 v27, 0xfffffc10, v28
	s_wait_alu 0xfffd
	v_cndmask_b32_e64 v16, 0, 1, vcc_lo
	v_cmp_ne_u32_e32 vcc_lo, 0, v24
	s_delay_alu instid0(VALU_DEP_3) | instskip(NEXT) | instid1(VALU_DEP_3)
	v_lshl_or_b32 v28, v27, 12, v25
	v_or_b32_e32 v16, v19, v16
	s_wait_alu 0xfffd
	v_cndmask_b32_e64 v24, 0, 1, vcc_lo
	v_cmp_gt_i32_e32 vcc_lo, 31, v9
	v_mul_f64_e32 v[19:20], s[8:9], v[21:22]
	s_delay_alu instid0(VALU_DEP_3)
	v_lshl_or_b32 v29, v24, 9, 0x7c00
	s_wait_alu 0xfffd
	v_cndmask_b32_e32 v13, 0x7c00, v13, vcc_lo
	v_cmp_gt_i32_e32 vcc_lo, 1, v27
	v_and_or_b32 v14, 0x1ff, v15, v14
	s_wait_alu 0xfffd
	v_cndmask_b32_e32 v16, v28, v16, vcc_lo
	s_delay_alu instid0(VALU_DEP_2) | instskip(NEXT) | instid1(VALU_DEP_2)
	v_cmp_ne_u32_e64 s0, 0, v14
	v_and_b32_e32 v28, 7, v16
	s_wait_alu 0xf1ff
	s_delay_alu instid0(VALU_DEP_2) | instskip(NEXT) | instid1(VALU_DEP_2)
	v_cndmask_b32_e64 v14, 0, 1, s0
	v_cmp_eq_u32_e64 s0, 3, v28
	v_and_or_b32 v19, 0x1ff, v20, v19
	s_wait_loadcnt 0x0
	v_fmac_f16_e32 v23, v30, v5
	v_mul_f16_e32 v5, v31, v5
	s_delay_alu instid0(VALU_DEP_2) | instskip(SKIP_3) | instid1(VALU_DEP_3)
	v_cvt_f32_f16_e32 v21, v23
	v_add_co_u32 v23, vcc_lo, v11, s2
	s_wait_alu 0xfffd
	v_add_co_ci_u32_e32 v24, vcc_lo, s3, v12, vcc_lo
	v_cvt_f64_f32_e32 v[21:22], v21
	v_cmp_eq_u32_e32 vcc_lo, 0x40f, v9
	v_fma_f16 v5, v30, v26, -v5
	global_store_b32 v[11:12], v3, off
	global_store_b32 v[23:24], v1, off
	scratch_load_b32 v31, off, off offset:124 th:TH_LOAD_LU ; 4-byte Folded Reload
	s_wait_alu 0xfffd
	v_cndmask_b32_e32 v9, v13, v29, vcc_lo
	v_lshrrev_b32_e32 v13, 16, v18
	v_cmp_lt_i32_e32 vcc_lo, 5, v28
	v_lshrrev_b32_e32 v18, 8, v15
	v_cvt_f32_f16_e32 v5, v5
	s_delay_alu instid0(VALU_DEP_4)
	v_and_or_b32 v9, 0x8000, v13, v9
	v_lshrrev_b32_e32 v13, 2, v16
	v_bfe_u32 v16, v15, 20, 11
	s_or_b32 vcc_lo, s0, vcc_lo
	v_and_or_b32 v28, 0xffe, v18, v14
	v_and_b32_e32 v9, 0xffff, v9
	s_wait_alu 0xfffe
	v_add_co_ci_u32_e32 v13, vcc_lo, 0, v13, vcc_lo
	v_sub_nc_u32_e32 v14, 0x3f1, v16
	v_cmp_ne_u32_e32 vcc_lo, 0, v25
	v_or_b32_e32 v25, 0x1000, v28
	s_delay_alu instid0(VALU_DEP_3) | instskip(SKIP_3) | instid1(VALU_DEP_3)
	v_med3_i32 v14, v14, 0, 13
	s_wait_alu 0xfffd
	v_cndmask_b32_e64 v18, 0, 1, vcc_lo
	v_cmp_gt_i32_e32 vcc_lo, 31, v27
	v_lshrrev_b32_e32 v26, v14, v25
	s_delay_alu instid0(VALU_DEP_3)
	v_lshl_or_b32 v18, v18, 9, 0x7c00
	s_wait_alu 0xfffd
	v_cndmask_b32_e32 v13, 0x7c00, v13, vcc_lo
	v_cmp_eq_u32_e32 vcc_lo, 0x40f, v27
	v_lshlrev_b32_e32 v29, v14, v26
	s_wait_alu 0xfffd
	s_delay_alu instid0(VALU_DEP_3)
	v_cndmask_b32_e32 v27, v13, v18, vcc_lo
	v_cmp_ne_u32_e32 vcc_lo, 0, v19
	v_mul_f64_e32 v[13:14], s[8:9], v[21:22]
	v_cvt_f64_f32_e32 v[18:19], v5
	v_lshrrev_b32_e32 v5, 8, v20
	v_bfe_u32 v21, v20, 20, 11
	s_wait_alu 0xfffd
	v_cndmask_b32_e64 v30, 0, 1, vcc_lo
	v_cmp_ne_u32_e32 vcc_lo, v29, v25
	v_add_nc_u32_e32 v25, 0xfffffc10, v16
	v_and_or_b32 v17, 0x8000, v17, v27
	v_sub_nc_u32_e32 v16, 0x3f1, v21
	v_and_or_b32 v5, 0xffe, v5, v30
	s_wait_alu 0xfffd
	v_cndmask_b32_e64 v22, 0, 1, vcc_lo
	v_cmp_gt_i32_e32 vcc_lo, 1, v25
	v_lshl_or_b32 v1, v17, 16, v9
	v_med3_i32 v16, v16, 0, 13
	v_or_b32_e32 v29, 0x1000, v5
	v_or_b32_e32 v22, v26, v22
	v_lshl_or_b32 v26, v25, 12, v28
	scratch_load_b32 v30, off, off offset:132 th:TH_LOAD_LU ; 4-byte Folded Reload
	v_add_nc_u32_e32 v21, 0xfffffc10, v21
	v_cmp_eq_u32_e64 s1, 0x40f, v25
	v_lshrrev_b32_e32 v20, 16, v20
	s_wait_alu 0xfffd
	v_cndmask_b32_e32 v22, v26, v22, vcc_lo
	v_lshrrev_b32_e32 v26, v16, v29
	v_add_co_u32 v11, vcc_lo, v23, s2
	v_lshrrev_b32_e32 v23, 16, v8
	s_delay_alu instid0(VALU_DEP_4) | instskip(NEXT) | instid1(VALU_DEP_4)
	v_and_b32_e32 v3, 7, v22
	v_lshlrev_b32_e32 v9, v16, v26
	s_wait_alu 0xfffd
	v_add_co_ci_u32_e32 v12, vcc_lo, s3, v24, vcc_lo
	v_lshl_or_b32 v24, v21, 12, v5
	v_cmp_lt_i32_e32 vcc_lo, 5, v3
	v_cmp_ne_u32_e64 s0, v9, v29
	scratch_load_b32 v29, off, off offset:112 th:TH_LOAD_LU ; 4-byte Folded Reload
	global_store_b32 v[11:12], v1, off
	s_wait_alu 0xf1ff
	v_cndmask_b32_e64 v9, 0, 1, s0
	v_cmp_eq_u32_e64 s0, 3, v3
	v_lshrrev_b32_e32 v3, 2, v22
	v_and_or_b32 v13, 0x1ff, v14, v13
	v_mul_f64_e32 v[16:17], s[8:9], v[18:19]
	v_or_b32_e32 v9, v26, v9
	s_or_b32 vcc_lo, s0, vcc_lo
	s_wait_alu 0xfffe
	v_add_co_ci_u32_e32 v3, vcc_lo, 0, v3, vcc_lo
	v_cmp_gt_i32_e32 vcc_lo, 1, v21
	s_wait_alu 0xfffd
	v_cndmask_b32_e32 v9, v24, v9, vcc_lo
	v_cmp_ne_u32_e32 vcc_lo, 0, v13
	v_bfe_u32 v24, v14, 20, 11
	s_delay_alu instid0(VALU_DEP_3)
	v_and_b32_e32 v27, 7, v9
	s_wait_alu 0xfffd
	v_cndmask_b32_e64 v13, 0, 1, vcc_lo
	v_cmp_ne_u32_e32 vcc_lo, 0, v28
	v_lshrrev_b32_e32 v9, 2, v9
	v_cmp_eq_u32_e64 s0, 3, v27
	s_wait_alu 0xfffd
	v_cndmask_b32_e64 v26, 0, 1, vcc_lo
	v_cmp_gt_i32_e32 vcc_lo, 31, v25
	v_lshrrev_b32_e32 v25, 16, v15
	s_delay_alu instid0(VALU_DEP_3) | instskip(SKIP_3) | instid1(VALU_DEP_2)
	v_lshl_or_b32 v26, v26, 9, 0x7c00
	s_wait_alu 0xfffd
	v_cndmask_b32_e32 v3, 0x7c00, v3, vcc_lo
	v_cmp_lt_i32_e32 vcc_lo, 5, v27
	v_cndmask_b32_e64 v3, v3, v26, s1
	s_or_b32 vcc_lo, s0, vcc_lo
	s_wait_alu 0xfffe
	v_add_co_ci_u32_e32 v9, vcc_lo, 0, v9, vcc_lo
	v_cmp_gt_i32_e32 vcc_lo, 31, v21
	v_and_or_b32 v15, 0x1ff, v17, v16
	v_and_or_b32 v3, 0x8000, v25, v3
	s_wait_alu 0xfffd
	v_cndmask_b32_e32 v26, 0x7c00, v9, vcc_lo
	s_delay_alu instid0(VALU_DEP_2) | instskip(SKIP_3) | instid1(VALU_DEP_1)
	v_and_b32_e32 v3, 0xffff, v3
	s_wait_loadcnt 0x1
	v_mul_f16_e32 v22, v30, v23
	s_wait_loadcnt 0x0
	v_fmac_f16_e32 v22, v29, v8
	v_mul_f16_e32 v8, v30, v8
	scratch_load_b32 v30, off, off offset:104 th:TH_LOAD_LU ; 4-byte Folded Reload
	v_cvt_f32_f16_e32 v18, v22
	v_lshrrev_b32_e32 v22, 8, v14
	v_fma_f16 v8, v29, v23, -v8
	v_lshrrev_b32_e32 v14, 16, v14
	s_delay_alu instid0(VALU_DEP_4) | instskip(NEXT) | instid1(VALU_DEP_4)
	v_cvt_f64_f32_e32 v[18:19], v18
	v_and_or_b32 v13, 0xffe, v22, v13
	v_sub_nc_u32_e32 v22, 0x3f1, v24
	v_cvt_f32_f16_e32 v8, v8
	s_delay_alu instid0(VALU_DEP_3) | instskip(NEXT) | instid1(VALU_DEP_3)
	v_or_b32_e32 v28, 0x1000, v13
	v_med3_i32 v22, v22, 0, 13
	s_delay_alu instid0(VALU_DEP_1) | instskip(NEXT) | instid1(VALU_DEP_1)
	v_lshrrev_b32_e32 v27, v22, v28
	v_lshlrev_b32_e32 v22, v22, v27
	s_delay_alu instid0(VALU_DEP_1)
	v_cmp_ne_u32_e32 vcc_lo, v22, v28
	v_add_nc_u32_e32 v22, 0xfffffc10, v24
	v_lshrrev_b32_e32 v24, 8, v17
	s_wait_alu 0xfffd
	v_cndmask_b32_e64 v9, 0, 1, vcc_lo
	v_cmp_ne_u32_e32 vcc_lo, 0, v5
	s_delay_alu instid0(VALU_DEP_2)
	v_or_b32_e32 v9, v27, v9
	s_wait_alu 0xfffd
	v_cndmask_b32_e64 v5, 0, 1, vcc_lo
	v_cmp_ne_u32_e32 vcc_lo, 0, v15
	v_bfe_u32 v27, v17, 20, 11
	v_cvt_f64_f32_e32 v[15:16], v8
	v_lshl_or_b32 v8, v22, 12, v13
	v_mul_f64_e32 v[18:19], s[8:9], v[18:19]
	s_wait_alu 0xfffd
	v_cndmask_b32_e64 v23, 0, 1, vcc_lo
	v_cmp_gt_i32_e32 vcc_lo, 1, v22
	v_lshl_or_b32 v5, v5, 9, 0x7c00
	v_lshrrev_b32_e32 v17, 16, v17
	s_delay_alu instid0(VALU_DEP_4)
	v_and_or_b32 v23, 0xffe, v24, v23
	v_sub_nc_u32_e32 v24, 0x3f1, v27
	s_wait_alu 0xfffd
	v_cndmask_b32_e32 v28, v8, v9, vcc_lo
	v_cmp_eq_u32_e32 vcc_lo, 0x40f, v21
	ds_load_2addr_b32 v[8:9], v47 offset0:96 offset1:151
	v_or_b32_e32 v29, 0x1000, v23
	v_med3_i32 v24, v24, 0, 13
	v_and_b32_e32 v25, 7, v28
	s_wait_alu 0xfffd
	v_cndmask_b32_e32 v5, v26, v5, vcc_lo
	s_delay_alu instid0(VALU_DEP_3) | instskip(NEXT) | instid1(VALU_DEP_3)
	v_lshrrev_b32_e32 v21, v24, v29
	v_cmp_lt_i32_e32 vcc_lo, 5, v25
	s_delay_alu instid0(VALU_DEP_3)
	v_and_or_b32 v1, 0x8000, v20, v5
	v_cmp_eq_u32_e64 s0, 3, v25
	v_lshrrev_b32_e32 v20, 2, v28
	v_lshlrev_b32_e32 v5, v24, v21
	v_add_nc_u32_e32 v24, 0xfffffc10, v27
	v_lshl_or_b32 v1, v1, 16, v3
	s_or_b32 vcc_lo, s0, vcc_lo
	s_delay_alu instid0(VALU_DEP_3)
	v_cmp_ne_u32_e64 s1, v5, v29
	s_wait_alu 0xfffe
	v_add_co_ci_u32_e32 v20, vcc_lo, 0, v20, vcc_lo
	v_cmp_ne_u32_e32 vcc_lo, 0, v13
	s_wait_dscnt 0x0
	v_lshrrev_b32_e32 v25, 16, v8
	s_wait_alu 0xf1ff
	v_cndmask_b32_e64 v5, 0, 1, s1
	v_cmp_eq_u32_e64 s1, 0x40f, v22
	s_wait_alu 0xfffd
	v_cndmask_b32_e64 v13, 0, 1, vcc_lo
	v_cmp_gt_i32_e32 vcc_lo, 1, v24
	v_or_b32_e32 v5, v21, v5
	v_lshl_or_b32 v21, v24, 12, v23
	v_mul_f16_e32 v26, v31, v25
	v_and_or_b32 v18, 0x1ff, v19, v18
	v_bfe_u32 v29, v19, 20, 11
	v_lshl_or_b32 v13, v13, 9, 0x7c00
	s_wait_alu 0xfffd
	v_cndmask_b32_e32 v5, v21, v5, vcc_lo
	v_cmp_gt_i32_e32 vcc_lo, 31, v22
	v_mul_f64_e32 v[15:16], s[8:9], v[15:16]
	s_wait_alu 0xfffd
	s_delay_alu instid0(VALU_DEP_3) | instskip(SKIP_2) | instid1(VALU_DEP_3)
	v_dual_cndmask_b32 v27, 0x7c00, v20 :: v_dual_and_b32 v28, 7, v5
	v_cmp_ne_u32_e32 vcc_lo, 0, v18
	v_lshrrev_b32_e32 v5, 2, v5
	v_cmp_eq_u32_e64 s0, 3, v28
	s_wait_alu 0xf1ff
	v_cndmask_b32_e64 v13, v27, v13, s1
	s_wait_alu 0xfffd
	v_cndmask_b32_e64 v18, 0, 1, vcc_lo
	v_cmp_lt_i32_e32 vcc_lo, 5, v28
	s_delay_alu instid0(VALU_DEP_3)
	v_and_or_b32 v28, 0x8000, v14, v13
	s_or_b32 vcc_lo, s0, vcc_lo
	s_wait_alu 0xfffe
	v_add_co_ci_u32_e32 v5, vcc_lo, 0, v5, vcc_lo
	v_cmp_ne_u32_e32 vcc_lo, 0, v23
	s_wait_alu 0xfffd
	v_cndmask_b32_e64 v23, 0, 1, vcc_lo
	v_cmp_gt_i32_e32 vcc_lo, 31, v24
	s_delay_alu instid0(VALU_DEP_2) | instskip(SKIP_4) | instid1(VALU_DEP_2)
	v_lshl_or_b32 v23, v23, 9, 0x7c00
	s_wait_alu 0xfffd
	v_cndmask_b32_e32 v5, 0x7c00, v5, vcc_lo
	v_cmp_eq_u32_e32 vcc_lo, 0x40f, v24
	s_wait_alu 0xfffd
	v_cndmask_b32_e32 v5, v5, v23, vcc_lo
	v_and_or_b32 v14, 0x1ff, v16, v15
	v_lshrrev_b32_e32 v24, 8, v16
	s_delay_alu instid0(VALU_DEP_3) | instskip(SKIP_1) | instid1(VALU_DEP_1)
	v_and_or_b32 v3, 0x8000, v17, v5
	v_and_b32_e32 v5, 0xffff, v28
	v_lshl_or_b32 v3, v3, 16, v5
	s_wait_loadcnt 0x0
	v_fmac_f16_e32 v26, v30, v8
	v_mul_f16_e32 v8, v31, v8
	s_delay_alu instid0(VALU_DEP_2) | instskip(SKIP_1) | instid1(VALU_DEP_3)
	v_cvt_f32_f16_e32 v20, v26
	v_lshrrev_b32_e32 v26, 8, v19
	v_fma_f16 v8, v30, v25, -v8
	scratch_load_b32 v30, off, off offset:116 th:TH_LOAD_LU ; 4-byte Folded Reload
	v_bfe_u32 v25, v16, 20, 11
	v_cvt_f64_f32_e32 v[20:21], v20
	v_and_or_b32 v18, 0xffe, v26, v18
	v_sub_nc_u32_e32 v26, 0x3f1, v29
	v_cvt_f32_f16_e32 v8, v8
	v_lshrrev_b32_e32 v19, 16, v19
	s_delay_alu instid0(VALU_DEP_4) | instskip(NEXT) | instid1(VALU_DEP_4)
	v_or_b32_e32 v22, 0x1000, v18
	v_med3_i32 v26, v26, 0, 13
	s_delay_alu instid0(VALU_DEP_1) | instskip(NEXT) | instid1(VALU_DEP_1)
	v_lshrrev_b32_e32 v27, v26, v22
	v_lshlrev_b32_e32 v13, v26, v27
	s_delay_alu instid0(VALU_DEP_1)
	v_cmp_ne_u32_e32 vcc_lo, v13, v22
	v_add_nc_u32_e32 v22, 0xfffffc10, v29
	scratch_load_b32 v29, off, off offset:96 th:TH_LOAD_LU ; 4-byte Folded Reload
	s_wait_alu 0xfffd
	v_cndmask_b32_e64 v15, 0, 1, vcc_lo
	v_cmp_ne_u32_e32 vcc_lo, 0, v14
	v_cvt_f64_f32_e32 v[13:14], v8
	s_delay_alu instid0(VALU_DEP_3)
	v_or_b32_e32 v8, v27, v15
	s_wait_alu 0xfffd
	v_cndmask_b32_e64 v23, 0, 1, vcc_lo
	v_lshl_or_b32 v15, v22, 12, v18
	v_cmp_gt_i32_e32 vcc_lo, 1, v22
	v_mul_f64_e32 v[20:21], s[8:9], v[20:21]
	s_delay_alu instid0(VALU_DEP_4)
	v_and_or_b32 v23, 0xffe, v24, v23
	v_sub_nc_u32_e32 v24, 0x3f1, v25
	s_wait_alu 0xfffd
	v_cndmask_b32_e32 v8, v15, v8, vcc_lo
	v_add_co_u32 v11, vcc_lo, v11, s2
	v_or_b32_e32 v15, 0x1000, v23
	v_med3_i32 v24, v24, 0, 13
	s_delay_alu instid0(VALU_DEP_4)
	v_and_b32_e32 v17, 7, v8
	s_wait_alu 0xfffd
	v_add_co_ci_u32_e32 v12, vcc_lo, s3, v12, vcc_lo
	v_lshrrev_b32_e32 v5, 2, v8
	v_lshrrev_b32_e32 v26, v24, v15
	v_cmp_lt_i32_e32 vcc_lo, 5, v17
	v_cmp_eq_u32_e64 s0, 3, v17
	s_delay_alu instid0(VALU_DEP_3) | instskip(NEXT) | instid1(VALU_DEP_2)
	v_lshlrev_b32_e32 v24, v24, v26
	s_or_b32 vcc_lo, s0, vcc_lo
	s_wait_alu 0xfffe
	v_add_co_ci_u32_e32 v5, vcc_lo, 0, v5, vcc_lo
	s_delay_alu instid0(VALU_DEP_2)
	v_cmp_ne_u32_e64 s1, v24, v15
	v_add_nc_u32_e32 v24, 0xfffffc10, v25
	v_cmp_gt_i32_e32 vcc_lo, 31, v22
	v_lshrrev_b32_e32 v15, 16, v7
	s_wait_alu 0xf1ff
	v_cndmask_b32_e64 v8, 0, 1, s1
	v_lshl_or_b32 v25, v24, 12, v23
	s_wait_alu 0xfffd
	v_cndmask_b32_e32 v5, 0x7c00, v5, vcc_lo
	v_cmp_gt_i32_e32 vcc_lo, 1, v24
	v_mul_f64_e32 v[13:14], s[8:9], v[13:14]
	v_or_b32_e32 v8, v26, v8
	v_cmp_eq_u32_e64 s1, 0x40f, v22
	s_wait_alu 0xfffd
	s_delay_alu instid0(VALU_DEP_2)
	v_cndmask_b32_e32 v8, v25, v8, vcc_lo
	v_and_or_b32 v20, 0x1ff, v21, v20
	v_cmp_ne_u32_e32 vcc_lo, 0, v18
	v_lshrrev_b32_e32 v27, 8, v21
	v_bfe_u32 v28, v21, 20, 11
	v_and_b32_e32 v26, 7, v8
	v_lshrrev_b32_e32 v8, 2, v8
	s_wait_alu 0xfffd
	v_cndmask_b32_e64 v25, 0, 1, vcc_lo
	v_cmp_ne_u32_e32 vcc_lo, 0, v20
	v_lshrrev_b32_e32 v21, 16, v21
	v_cmp_eq_u32_e64 s0, 3, v26
	s_delay_alu instid0(VALU_DEP_4)
	v_lshl_or_b32 v25, v25, 9, 0x7c00
	s_wait_alu 0xfffd
	v_cndmask_b32_e64 v20, 0, 1, vcc_lo
	v_cmp_lt_i32_e32 vcc_lo, 5, v26
	s_wait_alu 0xf1ff
	v_cndmask_b32_e64 v5, v5, v25, s1
	s_delay_alu instid0(VALU_DEP_3)
	v_and_or_b32 v26, 0xffe, v27, v20
	v_sub_nc_u32_e32 v20, 0x3f1, v28
	s_or_b32 vcc_lo, s0, vcc_lo
	s_wait_alu 0xfffe
	v_add_co_ci_u32_e32 v8, vcc_lo, 0, v8, vcc_lo
	v_or_b32_e32 v22, 0x1000, v26
	v_med3_i32 v20, v20, 0, 13
	v_cmp_ne_u32_e32 vcc_lo, 0, v23
	v_and_or_b32 v5, 0x8000, v19, v5
	s_delay_alu instid0(VALU_DEP_3)
	v_lshrrev_b32_e32 v25, v20, v22
	s_wait_alu 0xfffd
	v_cndmask_b32_e64 v23, 0, 1, vcc_lo
	v_cmp_gt_i32_e32 vcc_lo, 31, v24
	v_and_b32_e32 v5, 0xffff, v5
	v_lshlrev_b32_e32 v19, v20, v25
	s_delay_alu instid0(VALU_DEP_4)
	v_lshl_or_b32 v23, v23, 9, 0x7c00
	s_wait_alu 0xfffd
	v_cndmask_b32_e32 v8, 0x7c00, v8, vcc_lo
	v_cmp_eq_u32_e32 vcc_lo, 0x40f, v24
	v_bfe_u32 v24, v14, 20, 11
	s_wait_alu 0xfffd
	s_delay_alu instid0(VALU_DEP_3)
	v_cndmask_b32_e32 v23, v8, v23, vcc_lo
	v_and_or_b32 v8, 0x1ff, v14, v13
	v_cmp_ne_u32_e32 vcc_lo, v19, v22
	v_add_nc_u32_e32 v22, 0xfffffc10, v28
	v_lshrrev_b32_e32 v28, 16, v16
	s_wait_alu 0xfffd
	v_cndmask_b32_e64 v13, 0, 1, vcc_lo
	v_cmp_ne_u32_e32 vcc_lo, 0, v8
	s_delay_alu instid0(VALU_DEP_3) | instskip(NEXT) | instid1(VALU_DEP_3)
	v_and_or_b32 v23, 0x8000, v28, v23
	v_or_b32_e32 v13, v25, v13
	s_wait_alu 0xfffd
	v_cndmask_b32_e64 v8, 0, 1, vcc_lo
	v_lshl_or_b32 v25, v22, 12, v26
	v_cmp_gt_i32_e32 vcc_lo, 1, v22
	s_wait_alu 0xfffd
	s_delay_alu instid0(VALU_DEP_2) | instskip(SKIP_3) | instid1(VALU_DEP_1)
	v_cndmask_b32_e32 v13, v25, v13, vcc_lo
	s_wait_loadcnt 0x1
	v_mul_f16_e32 v17, v30, v15
	s_wait_loadcnt 0x0
	v_fmac_f16_e32 v17, v29, v7
	v_mul_f16_e32 v7, v30, v7
	v_and_b32_e32 v30, 7, v13
	s_delay_alu instid0(VALU_DEP_3) | instskip(NEXT) | instid1(VALU_DEP_3)
	v_cvt_f32_f16_e32 v17, v17
	v_fma_f16 v7, v29, v15, -v7
	v_lshrrev_b32_e32 v15, 8, v14
	s_delay_alu instid0(VALU_DEP_4) | instskip(NEXT) | instid1(VALU_DEP_4)
	v_cmp_eq_u32_e64 s0, 3, v30
	v_cvt_f64_f32_e32 v[17:18], v17
	s_delay_alu instid0(VALU_DEP_4) | instskip(NEXT) | instid1(VALU_DEP_4)
	v_cvt_f32_f16_e32 v7, v7
	v_and_or_b32 v27, 0xffe, v15, v8
	v_sub_nc_u32_e32 v15, 0x3f1, v24
	s_delay_alu instid0(VALU_DEP_3) | instskip(NEXT) | instid1(VALU_DEP_3)
	v_cvt_f64_f32_e32 v[19:20], v7
	v_or_b32_e32 v25, 0x1000, v27
	s_delay_alu instid0(VALU_DEP_3)
	v_med3_i32 v29, v15, 0, 13
	v_add_co_u32 v15, vcc_lo, v11, s2
	s_wait_alu 0xfffd
	v_add_co_ci_u32_e32 v16, vcc_lo, s3, v12, vcc_lo
	ds_load_2addr_b32 v[7:8], v46 offset0:184 offset1:239
	global_store_b32 v[11:12], v1, off
	global_store_b32 v[15:16], v3, off
	v_lshrrev_b32_e32 v28, v29, v25
	v_cmp_lt_i32_e32 vcc_lo, 5, v30
	scratch_load_b32 v30, off, off offset:108 th:TH_LOAD_LU ; 4-byte Folded Reload
	v_lshl_or_b32 v1, v23, 16, v5
	v_lshrrev_b32_e32 v11, 2, v13
	v_lshlrev_b32_e32 v3, v29, v28
	scratch_load_b32 v29, off, off offset:88 th:TH_LOAD_LU ; 4-byte Folded Reload
	s_or_b32 vcc_lo, s0, vcc_lo
	v_add_nc_u32_e32 v13, 0xfffffc10, v24
	s_wait_alu 0xfffe
	v_add_co_ci_u32_e32 v24, vcc_lo, 0, v11, vcc_lo
	v_cmp_ne_u32_e64 s1, v3, v25
	v_cmp_ne_u32_e32 vcc_lo, 0, v26
	v_lshl_or_b32 v25, v13, 12, v27
	s_clause 0x1
	scratch_load_b32 v33, off, off offset:76 th:TH_LOAD_LU
	scratch_load_b32 v32, off, off offset:56 th:TH_LOAD_LU
	s_wait_alu 0xf1ff
	v_cndmask_b32_e64 v3, 0, 1, s1
	s_wait_dscnt 0x0
	v_lshrrev_b32_e32 v5, 16, v7
	s_wait_alu 0xfffd
	v_cndmask_b32_e64 v26, 0, 1, vcc_lo
	v_cmp_gt_i32_e32 vcc_lo, 1, v13
	v_cmp_eq_u32_e64 s1, 0x40f, v22
	v_or_b32_e32 v3, v28, v3
	v_mul_f64_e32 v[17:18], s[8:9], v[17:18]
	v_lshl_or_b32 v26, v26, 9, 0x7c00
	s_wait_alu 0xfffd
	s_delay_alu instid0(VALU_DEP_3) | instskip(SKIP_1) | instid1(VALU_DEP_2)
	v_cndmask_b32_e32 v3, v25, v3, vcc_lo
	v_mul_f64_e32 v[11:12], s[8:9], v[19:20]
	v_and_b32_e32 v28, 7, v3
	v_lshrrev_b32_e32 v3, 2, v3
	s_delay_alu instid0(VALU_DEP_2) | instskip(SKIP_2) | instid1(VALU_DEP_2)
	v_cmp_eq_u32_e64 s0, 3, v28
	v_and_or_b32 v17, 0x1ff, v18, v17
	v_bfe_u32 v25, v18, 20, 11
	v_cmp_ne_u32_e32 vcc_lo, 0, v17
	v_and_or_b32 v11, 0x1ff, v12, v11
	s_wait_alu 0xfffd
	v_cndmask_b32_e64 v17, 0, 1, vcc_lo
	v_cmp_gt_i32_e32 vcc_lo, 31, v22
	s_wait_alu 0xfffd
	v_cndmask_b32_e32 v24, 0x7c00, v24, vcc_lo
	v_cmp_lt_i32_e32 vcc_lo, 5, v28
	s_wait_alu 0xf1ff
	s_delay_alu instid0(VALU_DEP_2)
	v_cndmask_b32_e64 v22, v24, v26, s1
	s_or_b32 vcc_lo, s0, vcc_lo
	s_wait_alu 0xfffe
	v_add_co_ci_u32_e32 v3, vcc_lo, 0, v3, vcc_lo
	v_cmp_ne_u32_e32 vcc_lo, 0, v27
	v_and_or_b32 v21, 0x8000, v21, v22
	s_wait_alu 0xfffd
	v_cndmask_b32_e64 v26, 0, 1, vcc_lo
	v_cmp_gt_i32_e32 vcc_lo, 31, v13
	s_delay_alu instid0(VALU_DEP_3) | instskip(NEXT) | instid1(VALU_DEP_3)
	v_and_b32_e32 v21, 0xffff, v21
	v_lshl_or_b32 v22, v26, 9, 0x7c00
	s_wait_alu 0xfffd
	v_cndmask_b32_e32 v3, 0x7c00, v3, vcc_lo
	s_wait_loadcnt 0x3
	v_mul_f16_e32 v23, v30, v5
	s_wait_loadcnt 0x2
	s_delay_alu instid0(VALU_DEP_1)
	v_fmac_f16_e32 v23, v29, v7
	v_mul_f16_e32 v7, v30, v7
	scratch_load_b32 v30, off, off offset:100 th:TH_LOAD_LU ; 4-byte Folded Reload
	v_cvt_f32_f16_e32 v19, v23
	v_fma_f16 v5, v29, v5, -v7
	scratch_load_b32 v29, off, off offset:80 th:TH_LOAD_LU ; 4-byte Folded Reload
	v_lshrrev_b32_e32 v23, 8, v18
	v_lshrrev_b32_e32 v7, 8, v12
	v_cvt_f64_f32_e32 v[19:20], v19
	v_cvt_f32_f16_e32 v5, v5
	s_delay_alu instid0(VALU_DEP_4) | instskip(SKIP_2) | instid1(VALU_DEP_3)
	v_and_or_b32 v17, 0xffe, v23, v17
	v_sub_nc_u32_e32 v23, 0x3f1, v25
	v_add_nc_u32_e32 v25, 0xfffffc10, v25
	v_or_b32_e32 v28, 0x1000, v17
	s_delay_alu instid0(VALU_DEP_3) | instskip(NEXT) | instid1(VALU_DEP_1)
	v_med3_i32 v23, v23, 0, 13
	v_lshrrev_b32_e32 v24, v23, v28
	s_delay_alu instid0(VALU_DEP_1) | instskip(NEXT) | instid1(VALU_DEP_1)
	v_lshlrev_b32_e32 v23, v23, v24
	v_cmp_ne_u32_e32 vcc_lo, v23, v28
	s_wait_alu 0xfffd
	v_cndmask_b32_e64 v23, 0, 1, vcc_lo
	v_cmp_eq_u32_e32 vcc_lo, 0x40f, v13
	s_delay_alu instid0(VALU_DEP_2)
	v_or_b32_e32 v13, v24, v23
	s_wait_alu 0xfffd
	v_cndmask_b32_e32 v3, v3, v22, vcc_lo
	v_cmp_ne_u32_e32 vcc_lo, 0, v11
	v_lshl_or_b32 v22, v25, 12, v17
	v_bfe_u32 v23, v12, 20, 11
	v_lshrrev_b32_e32 v24, 16, v14
	v_mul_f64_e32 v[19:20], s[8:9], v[19:20]
	s_wait_alu 0xfffd
	v_cndmask_b32_e64 v11, 0, 1, vcc_lo
	v_cmp_gt_i32_e32 vcc_lo, 1, v25
	v_and_or_b32 v3, 0x8000, v24, v3
	s_delay_alu instid0(VALU_DEP_3)
	v_and_or_b32 v7, 0xffe, v7, v11
	s_wait_alu 0xfffd
	v_cndmask_b32_e32 v22, v22, v13, vcc_lo
	v_sub_nc_u32_e32 v11, 0x3f1, v23
	v_add_co_u32 v15, vcc_lo, v15, s2
	s_wait_alu 0xfffd
	v_add_co_ci_u32_e32 v16, vcc_lo, s3, v16, vcc_lo
	v_and_b32_e32 v26, 7, v22
	v_cvt_f64_f32_e32 v[13:14], v5
	v_or_b32_e32 v5, 0x1000, v7
	v_med3_i32 v11, v11, 0, 13
	global_store_b32 v[15:16], v1, off
	v_cmp_lt_i32_e32 vcc_lo, 5, v26
	v_cmp_eq_u32_e64 s0, 3, v26
	v_lshrrev_b32_e32 v1, 2, v22
	v_lshrrev_b32_e32 v24, v11, v5
	;; [unrolled: 1-line block ×3, first 2 shown]
	v_lshl_or_b32 v3, v3, 16, v21
	s_or_b32 vcc_lo, s0, vcc_lo
	v_add_nc_u32_e32 v23, 0xfffffc10, v23
	s_wait_alu 0xfffe
	v_add_co_ci_u32_e32 v1, vcc_lo, 0, v1, vcc_lo
	v_lshlrev_b32_e32 v11, v11, v24
	v_cmp_ne_u32_e32 vcc_lo, 0, v17
	v_lshl_or_b32 v27, v23, 12, v7
	s_wait_alu 0xfffd
	v_cndmask_b32_e64 v17, 0, 1, vcc_lo
	v_cmp_ne_u32_e32 vcc_lo, v11, v5
	v_and_or_b32 v19, 0x1ff, v20, v19
	v_lshrrev_b32_e32 v21, 8, v20
	s_wait_alu 0xfffd
	v_cndmask_b32_e64 v5, 0, 1, vcc_lo
	v_cmp_gt_i32_e32 vcc_lo, 31, v25
	v_lshl_or_b32 v17, v17, 9, 0x7c00
	s_delay_alu instid0(VALU_DEP_3)
	v_or_b32_e32 v5, v24, v5
	s_wait_alu 0xfffd
	v_cndmask_b32_e32 v1, 0x7c00, v1, vcc_lo
	v_cmp_ne_u32_e32 vcc_lo, 0, v19
	v_bfe_u32 v24, v20, 20, 11
	s_wait_alu 0xfffd
	v_cndmask_b32_e64 v19, 0, 1, vcc_lo
	v_mul_f64_e32 v[13:14], s[8:9], v[13:14]
	v_cmp_gt_i32_e32 vcc_lo, 1, v23
	v_sub_nc_u32_e32 v28, 0x3f1, v24
	v_add_nc_u32_e32 v24, 0xfffffc10, v24
	v_and_or_b32 v19, 0xffe, v21, v19
	s_wait_alu 0xfffd
	v_cndmask_b32_e32 v5, v27, v5, vcc_lo
	v_cmp_eq_u32_e32 vcc_lo, 0x40f, v25
	v_med3_i32 v27, v28, 0, 13
	s_wait_alu 0xfffd
	v_cndmask_b32_e32 v1, v1, v17, vcc_lo
	v_lshrrev_b32_e32 v17, 16, v18
	v_and_b32_e32 v18, 7, v5
	v_add_co_u32 v15, vcc_lo, v15, s2
	s_wait_alu 0xfffd
	v_add_co_ci_u32_e32 v16, vcc_lo, s3, v16, vcc_lo
	s_delay_alu instid0(VALU_DEP_3)
	v_cmp_lt_i32_e32 vcc_lo, 5, v18
	v_cmp_eq_u32_e64 s0, 3, v18
	v_lshrrev_b32_e32 v5, 2, v5
	v_and_or_b32 v1, 0x8000, v17, v1
	global_store_b32 v[15:16], v3, off
	s_or_b32 vcc_lo, s0, vcc_lo
	s_wait_alu 0xfffe
	v_add_co_ci_u32_e32 v5, vcc_lo, 0, v5, vcc_lo
	v_cmp_ne_u32_e32 vcc_lo, 0, v7
	v_and_b32_e32 v1, 0xffff, v1
	s_wait_alu 0xfffd
	v_cndmask_b32_e64 v7, 0, 1, vcc_lo
	v_cmp_gt_i32_e32 vcc_lo, 31, v23
	v_and_or_b32 v13, 0x1ff, v14, v13
	s_delay_alu instid0(VALU_DEP_3)
	v_lshl_or_b32 v7, v7, 9, 0x7c00
	s_wait_alu 0xfffd
	v_cndmask_b32_e32 v5, 0x7c00, v5, vcc_lo
	v_cmp_gt_i32_e32 vcc_lo, 1, v24
	s_wait_loadcnt 0x1
	v_mul_f16_e32 v11, v30, v26
	s_wait_loadcnt 0x0
	s_delay_alu instid0(VALU_DEP_1)
	v_fmac_f16_e32 v11, v29, v10
	v_mul_f16_e32 v10, v30, v10
	scratch_load_b32 v30, off, off offset:92 th:TH_LOAD_LU ; 4-byte Folded Reload
	v_cvt_f32_f16_e32 v11, v11
	v_fma_f16 v10, v29, v26, -v10
	scratch_load_b32 v29, off, off offset:72 th:TH_LOAD_LU ; 4-byte Folded Reload
	v_bfe_u32 v26, v14, 20, 11
	v_cvt_f64_f32_e32 v[21:22], v11
	v_or_b32_e32 v11, 0x1000, v19
	v_cvt_f32_f16_e32 v10, v10
	s_delay_alu instid0(VALU_DEP_2) | instskip(NEXT) | instid1(VALU_DEP_1)
	v_lshrrev_b32_e32 v25, v27, v11
	v_lshlrev_b32_e32 v17, v27, v25
	s_delay_alu instid0(VALU_DEP_1) | instskip(NEXT) | instid1(VALU_DEP_4)
	v_cmp_ne_u32_e64 s1, v17, v11
	v_cvt_f64_f32_e32 v[17:18], v10
	s_wait_alu 0xf1ff
	s_delay_alu instid0(VALU_DEP_2) | instskip(NEXT) | instid1(VALU_DEP_1)
	v_cndmask_b32_e64 v11, 0, 1, s1
	v_or_b32_e32 v10, v25, v11
	v_lshl_or_b32 v11, v24, 12, v19
	s_wait_alu 0xfffd
	s_delay_alu instid0(VALU_DEP_1)
	v_cndmask_b32_e32 v25, v11, v10, vcc_lo
	v_cmp_ne_u32_e32 vcc_lo, 0, v13
	v_lshrrev_b32_e32 v11, 8, v14
	v_sub_nc_u32_e32 v13, 0x3f1, v26
	v_add_nc_u32_e32 v26, 0xfffffc10, v26
	v_lshrrev_b32_e32 v3, 2, v25
	v_mul_f64_e32 v[21:22], s[8:9], v[21:22]
	s_wait_alu 0xfffd
	v_cndmask_b32_e64 v10, 0, 1, vcc_lo
	v_cmp_eq_u32_e32 vcc_lo, 0x40f, v23
	v_med3_i32 v13, v13, 0, 13
	s_delay_alu instid0(VALU_DEP_3)
	v_and_or_b32 v23, 0xffe, v11, v10
	s_wait_alu 0xfffd
	v_cndmask_b32_e32 v5, v5, v7, vcc_lo
	v_lshrrev_b32_e32 v7, 16, v12
	v_and_b32_e32 v12, 7, v25
	ds_load_2addr_b32 v[10:11], v45 offset0:94 offset1:149
	v_and_or_b32 v5, 0x8000, v7, v5
	v_cmp_lt_i32_e32 vcc_lo, 5, v12
	v_cmp_eq_u32_e64 s0, 3, v12
	v_or_b32_e32 v7, 0x1000, v23
	s_delay_alu instid0(VALU_DEP_4) | instskip(NEXT) | instid1(VALU_DEP_3)
	v_lshl_or_b32 v1, v5, 16, v1
	s_or_b32 vcc_lo, s0, vcc_lo
	s_delay_alu instid0(VALU_DEP_2)
	v_lshrrev_b32_e32 v25, v13, v7
	s_wait_alu 0xfffe
	v_add_co_ci_u32_e32 v3, vcc_lo, 0, v3, vcc_lo
	v_add_co_u32 v15, vcc_lo, v15, s4
	s_wait_alu 0xfffd
	v_add_co_ci_u32_e32 v16, vcc_lo, s5, v16, vcc_lo
	v_lshlrev_b32_e32 v5, v13, v25
	v_mul_f64_e32 v[12:13], s[8:9], v[17:18]
	v_cmp_gt_i32_e32 vcc_lo, 31, v24
	s_wait_dscnt 0x0
	v_lshrrev_b32_e32 v27, 16, v10
	v_lshl_or_b32 v18, v26, 12, v23
	global_store_b32 v[15:16], v1, off
	s_wait_alu 0xfffd
	v_cndmask_b32_e32 v3, 0x7c00, v3, vcc_lo
	v_cmp_ne_u32_e32 vcc_lo, v5, v7
	v_and_or_b32 v17, 0x1ff, v22, v21
	v_bfe_u32 v28, v22, 20, 11
	s_wait_alu 0xfffd
	v_cndmask_b32_e64 v5, 0, 1, vcc_lo
	v_cmp_ne_u32_e32 vcc_lo, 0, v19
	s_delay_alu instid0(VALU_DEP_2)
	v_or_b32_e32 v5, v25, v5
	s_wait_alu 0xfffd
	v_cndmask_b32_e64 v19, 0, 1, vcc_lo
	v_cmp_ne_u32_e32 vcc_lo, 0, v17
	v_lshrrev_b32_e32 v25, 8, v22
	s_wait_alu 0xfffd
	v_cndmask_b32_e64 v21, 0, 1, vcc_lo
	v_cmp_gt_i32_e32 vcc_lo, 1, v26
	s_delay_alu instid0(VALU_DEP_2) | instskip(SKIP_4) | instid1(VALU_DEP_3)
	v_and_or_b32 v21, 0xffe, v25, v21
	s_wait_alu 0xfffd
	v_cndmask_b32_e32 v5, v18, v5, vcc_lo
	v_cmp_eq_u32_e32 vcc_lo, 0x40f, v24
	v_lshrrev_b32_e32 v24, 16, v20
	v_and_b32_e32 v25, 7, v5
	v_lshrrev_b32_e32 v5, 2, v5
	v_and_or_b32 v12, 0x1ff, v13, v12
	v_lshrrev_b32_e32 v20, 8, v13
	s_delay_alu instid0(VALU_DEP_4) | instskip(SKIP_3) | instid1(VALU_DEP_1)
	v_cmp_eq_u32_e64 s0, 3, v25
	s_wait_loadcnt 0x1
	v_mul_f16_e32 v7, v30, v27
	s_wait_loadcnt 0x0
	v_fmac_f16_e32 v7, v29, v10
	v_mul_f16_e32 v10, v30, v10
	scratch_load_b32 v30, off, off offset:84 th:TH_LOAD_LU ; 4-byte Folded Reload
	v_cvt_f32_f16_e32 v7, v7
	v_fma_f16 v10, v29, v27, -v10
	v_bfe_u32 v27, v13, 20, 11
	s_delay_alu instid0(VALU_DEP_3)
	v_cvt_f64_f32_e32 v[17:18], v7
	v_lshl_or_b32 v7, v19, 9, 0x7c00
	v_sub_nc_u32_e32 v19, 0x3f1, v28
	v_cvt_f32_f16_e32 v10, v10
	v_add_nc_u32_e32 v28, 0xfffffc10, v28
	v_sub_nc_u32_e32 v29, 0x3f1, v27
	s_wait_alu 0xfffd
	v_cndmask_b32_e32 v3, v3, v7, vcc_lo
	v_or_b32_e32 v7, 0x1000, v21
	v_med3_i32 v19, v19, 0, 13
	v_cmp_lt_i32_e32 vcc_lo, 5, v25
	v_med3_i32 v29, v29, 0, 13
	v_and_or_b32 v1, 0x8000, v24, v3
	s_delay_alu instid0(VALU_DEP_4) | instskip(SKIP_3) | instid1(VALU_DEP_2)
	v_lshrrev_b32_e32 v25, v19, v7
	s_or_b32 vcc_lo, s0, vcc_lo
	s_wait_alu 0xfffe
	v_add_co_ci_u32_e32 v5, vcc_lo, 0, v5, vcc_lo
	v_lshlrev_b32_e32 v19, v19, v25
	v_cmp_ne_u32_e32 vcc_lo, 0, v12
	v_and_b32_e32 v1, 0xffff, v1
	s_wait_alu 0xfffd
	v_cndmask_b32_e64 v12, 0, 1, vcc_lo
	v_cmp_ne_u32_e32 vcc_lo, v19, v7
	s_delay_alu instid0(VALU_DEP_2)
	v_and_or_b32 v12, 0xffe, v20, v12
	s_wait_alu 0xfffd
	v_cndmask_b32_e64 v7, 0, 1, vcc_lo
	v_cmp_ne_u32_e32 vcc_lo, 0, v23
	v_cvt_f64_f32_e32 v[19:20], v10
	v_lshl_or_b32 v23, v28, 12, v21
	s_delay_alu instid0(VALU_DEP_4)
	v_or_b32_e32 v7, v25, v7
	s_wait_alu 0xfffd
	v_cndmask_b32_e64 v10, 0, 1, vcc_lo
	v_cmp_gt_i32_e32 vcc_lo, 31, v26
	v_or_b32_e32 v25, 0x1000, v12
	v_mul_f64_e32 v[17:18], s[8:9], v[17:18]
	s_delay_alu instid0(VALU_DEP_4)
	v_lshl_or_b32 v10, v10, 9, 0x7c00
	s_wait_alu 0xfffd
	v_cndmask_b32_e32 v5, 0x7c00, v5, vcc_lo
	v_cmp_gt_i32_e32 vcc_lo, 1, v28
	s_wait_alu 0xfffd
	v_cndmask_b32_e32 v7, v23, v7, vcc_lo
	v_lshrrev_b32_e32 v23, v29, v25
	v_cmp_eq_u32_e32 vcc_lo, 0x40f, v26
	s_delay_alu instid0(VALU_DEP_2)
	v_lshlrev_b32_e32 v26, v29, v23
	scratch_load_b32 v29, off, off offset:64 th:TH_LOAD_LU ; 4-byte Folded Reload
	s_wait_alu 0xfffd
	v_cndmask_b32_e32 v5, v5, v10, vcc_lo
	v_lshrrev_b32_e32 v10, 16, v14
	v_and_b32_e32 v14, 7, v7
	v_cmp_ne_u32_e64 s0, v26, v25
	v_lshrrev_b32_e32 v7, 2, v7
	v_lshrrev_b32_e32 v25, 16, v6
	v_and_or_b32 v3, 0x8000, v10, v5
	v_cmp_lt_i32_e32 vcc_lo, 5, v14
	s_wait_alu 0xf1ff
	v_cndmask_b32_e64 v5, 0, 1, s0
	v_cmp_eq_u32_e64 s0, 3, v14
	v_add_nc_u32_e32 v10, 0xfffffc10, v27
	v_lshl_or_b32 v1, v3, 16, v1
	s_delay_alu instid0(VALU_DEP_4) | instskip(NEXT) | instid1(VALU_DEP_4)
	v_or_b32_e32 v5, v23, v5
	s_or_b32 vcc_lo, s0, vcc_lo
	s_delay_alu instid0(VALU_DEP_3)
	v_lshl_or_b32 v14, v10, 12, v12
	s_wait_alu 0xfffe
	v_add_co_ci_u32_e32 v7, vcc_lo, 0, v7, vcc_lo
	v_cmp_gt_i32_e32 vcc_lo, 1, v10
	v_mul_f64_e32 v[19:20], s[8:9], v[19:20]
	v_and_or_b32 v17, 0x1ff, v18, v17
	v_lshrrev_b32_e32 v26, 8, v18
	s_wait_alu 0xfffd
	v_cndmask_b32_e32 v5, v14, v5, vcc_lo
	v_cmp_ne_u32_e32 vcc_lo, 0, v21
	v_bfe_u32 v27, v18, 20, 11
	v_cmp_ne_u32_e64 s1, 0, v17
	s_delay_alu instid0(VALU_DEP_4)
	v_and_b32_e32 v23, 7, v5
	s_wait_alu 0xfffd
	v_cndmask_b32_e64 v14, 0, 1, vcc_lo
	v_cmp_gt_i32_e32 vcc_lo, 31, v28
	v_lshrrev_b32_e32 v5, 2, v5
	s_wait_alu 0xf1ff
	v_cndmask_b32_e64 v17, 0, 1, s1
	v_cmp_eq_u32_e64 s0, 3, v23
	v_lshl_or_b32 v14, v14, 9, 0x7c00
	s_wait_alu 0xfffd
	v_cndmask_b32_e32 v7, 0x7c00, v7, vcc_lo
	v_cmp_lt_i32_e32 vcc_lo, 5, v23
	v_and_or_b32 v26, 0xffe, v26, v17
	v_sub_nc_u32_e32 v17, 0x3f1, v27
	s_or_b32 vcc_lo, s0, vcc_lo
	s_wait_alu 0xfffe
	v_add_co_ci_u32_e32 v5, vcc_lo, 0, v5, vcc_lo
	v_cmp_ne_u32_e32 vcc_lo, 0, v12
	v_med3_i32 v17, v17, 0, 13
	s_wait_alu 0xfffd
	v_cndmask_b32_e64 v12, 0, 1, vcc_lo
	v_cmp_gt_i32_e32 vcc_lo, 31, v10
	s_delay_alu instid0(VALU_DEP_2)
	v_lshl_or_b32 v12, v12, 9, 0x7c00
	s_wait_alu 0xfffd
	v_cndmask_b32_e32 v5, 0x7c00, v5, vcc_lo
	v_cmp_eq_u32_e32 vcc_lo, 0x40f, v28
	s_wait_alu 0xfffd
	v_cndmask_b32_e32 v7, v7, v14, vcc_lo
	v_lshrrev_b32_e32 v14, 16, v22
	v_cmp_eq_u32_e32 vcc_lo, 0x40f, v10
	v_lshrrev_b32_e32 v10, 16, v13
	s_delay_alu instid0(VALU_DEP_3)
	v_and_or_b32 v7, 0x8000, v14, v7
	s_wait_alu 0xfffd
	v_cndmask_b32_e32 v5, v5, v12, vcc_lo
	v_and_or_b32 v12, 0x1ff, v20, v19
	v_bfe_u32 v19, v20, 20, 11
	v_and_b32_e32 v7, 0xffff, v7
	s_delay_alu instid0(VALU_DEP_4) | instskip(NEXT) | instid1(VALU_DEP_1)
	v_and_or_b32 v10, 0x8000, v10, v5
	v_lshl_or_b32 v7, v10, 16, v7
	s_wait_loadcnt 0x1
	v_mul_f16_e32 v21, v30, v25
	v_mul_f16_e32 v5, v30, v6
	s_wait_loadcnt 0x0
	s_delay_alu instid0(VALU_DEP_2) | instskip(NEXT) | instid1(VALU_DEP_2)
	v_fmac_f16_e32 v21, v29, v6
	v_fma_f16 v5, v29, v25, -v5
	v_add_nc_u32_e32 v25, 0xfffffc10, v27
	s_delay_alu instid0(VALU_DEP_3) | instskip(NEXT) | instid1(VALU_DEP_3)
	v_cvt_f32_f16_e32 v21, v21
	v_cvt_f32_f16_e32 v5, v5
	s_delay_alu instid0(VALU_DEP_3) | instskip(NEXT) | instid1(VALU_DEP_3)
	v_lshl_or_b32 v14, v25, 12, v26
	v_cvt_f64_f32_e32 v[23:24], v21
	v_or_b32_e32 v21, 0x1000, v26
	s_delay_alu instid0(VALU_DEP_1) | instskip(NEXT) | instid1(VALU_DEP_1)
	v_lshrrev_b32_e32 v22, v17, v21
	v_lshlrev_b32_e32 v3, v17, v22
	s_delay_alu instid0(VALU_DEP_1) | instskip(SKIP_4) | instid1(VALU_DEP_3)
	v_cmp_ne_u32_e32 vcc_lo, v3, v21
	s_wait_alu 0xfffd
	v_cndmask_b32_e64 v3, 0, 1, vcc_lo
	v_cmp_ne_u32_e32 vcc_lo, 0, v12
	v_lshrrev_b32_e32 v12, 8, v20
	v_or_b32_e32 v3, v22, v3
	s_wait_alu 0xfffd
	v_cndmask_b32_e64 v6, 0, 1, vcc_lo
	v_cvt_f64_f32_e32 v[21:22], v5
	v_cmp_gt_i32_e32 vcc_lo, 1, v25
	s_delay_alu instid0(VALU_DEP_3)
	v_and_or_b32 v27, 0xffe, v12, v6
	v_sub_nc_u32_e32 v6, 0x3f1, v19
	s_wait_alu 0xfffd
	v_cndmask_b32_e32 v3, v14, v3, vcc_lo
	v_add_co_u32 v14, vcc_lo, v15, s2
	s_wait_alu 0xfffd
	v_add_co_ci_u32_e32 v15, vcc_lo, s3, v16, vcc_lo
	v_mul_f64_e32 v[12:13], s[8:9], v[23:24]
	v_or_b32_e32 v23, 0x1000, v27
	v_med3_i32 v17, v6, 0, 13
	v_and_b32_e32 v10, 7, v3
	v_add_co_u32 v16, vcc_lo, v14, s2
	v_lshrrev_b32_e32 v3, 2, v3
	s_delay_alu instid0(VALU_DEP_4) | instskip(NEXT) | instid1(VALU_DEP_4)
	v_lshrrev_b32_e32 v24, v17, v23
	v_cmp_eq_u32_e64 s0, 3, v10
	ds_load_2addr_b32 v[5:6], v44 offset0:4 offset1:59
	v_lshlrev_b32_e32 v28, v17, v24
	s_wait_alu 0xfffd
	v_add_co_ci_u32_e32 v17, vcc_lo, s3, v15, vcc_lo
	v_cmp_lt_i32_e32 vcc_lo, 5, v10
	global_store_b32 v[14:15], v1, off
	global_store_b32 v[16:17], v7, off
	v_cmp_ne_u32_e64 s1, v28, v23
	v_add_nc_u32_e32 v28, 0xfffffc10, v19
	s_or_b32 vcc_lo, s0, vcc_lo
	s_wait_alu 0xfffe
	v_add_co_ci_u32_e32 v3, vcc_lo, 0, v3, vcc_lo
	v_cndmask_b32_e64 v10, 0, 1, s1
	v_cmp_ne_u32_e32 vcc_lo, 0, v26
	v_lshl_or_b32 v23, v28, 12, v27
	v_mul_f64_e32 v[21:22], s[8:9], v[21:22]
	s_delay_alu instid0(VALU_DEP_4)
	v_or_b32_e32 v10, v24, v10
	s_wait_alu 0xfffd
	v_cndmask_b32_e64 v26, 0, 1, vcc_lo
	v_cmp_gt_i32_e32 vcc_lo, 1, v28
	s_wait_dscnt 0x0
	v_lshrrev_b32_e32 v19, 16, v5
	s_delay_alu instid0(VALU_DEP_3)
	v_lshl_or_b32 v26, v26, 9, 0x7c00
	s_wait_alu 0xfffd
	v_cndmask_b32_e32 v10, v23, v10, vcc_lo
	v_cmp_gt_i32_e32 vcc_lo, 31, v25
	v_and_or_b32 v12, 0x1ff, v13, v12
	v_mul_f16_e32 v24, v33, v19
	v_lshrrev_b32_e32 v30, 8, v13
	v_and_b32_e32 v29, 7, v10
	s_wait_alu 0xfffd
	v_cndmask_b32_e32 v3, 0x7c00, v3, vcc_lo
	v_cmp_ne_u32_e32 vcc_lo, 0, v12
	v_bfe_u32 v31, v13, 20, 11
	v_lshrrev_b32_e32 v10, 2, v10
	v_cmp_eq_u32_e64 s0, 3, v29
	v_fmac_f16_e32 v24, v32, v5
	s_wait_alu 0xfffd
	v_cndmask_b32_e64 v12, 0, 1, vcc_lo
	v_cmp_eq_u32_e32 vcc_lo, 0x40f, v25
	v_lshrrev_b32_e32 v25, 16, v18
	v_sub_nc_u32_e32 v18, 0x3f1, v31
	v_mul_f16_e32 v5, v33, v5
	v_and_or_b32 v12, 0xffe, v30, v12
	s_wait_alu 0xfffd
	v_cndmask_b32_e32 v3, v3, v26, vcc_lo
	v_cmp_lt_i32_e32 vcc_lo, 5, v29
	v_med3_i32 v29, v18, 0, 13
	v_fma_f16 v5, v32, v19, -v5
	v_or_b32_e32 v26, 0x1000, v12
	v_and_or_b32 v3, 0x8000, v25, v3
	s_or_b32 vcc_lo, s0, vcc_lo
	v_lshrrev_b32_e32 v25, 16, v20
	s_wait_alu 0xfffe
	v_add_co_ci_u32_e32 v10, vcc_lo, 0, v10, vcc_lo
	v_cmp_ne_u32_e32 vcc_lo, 0, v27
	v_cvt_f32_f16_e32 v5, v5
	v_lshrrev_b32_e32 v27, v29, v26
	v_and_or_b32 v21, 0x1ff, v22, v21
	v_cvt_f32_f16_e32 v23, v24
	s_wait_alu 0xfffd
	v_cndmask_b32_e64 v18, 0, 1, vcc_lo
	v_cmp_gt_i32_e32 vcc_lo, 31, v28
	v_and_b32_e32 v3, 0xffff, v3
	v_cvt_f64_f32_e32 v[23:24], v23
	s_delay_alu instid0(VALU_DEP_4)
	v_lshl_or_b32 v30, v18, 9, 0x7c00
	s_wait_alu 0xfffd
	v_cndmask_b32_e32 v10, 0x7c00, v10, vcc_lo
	v_cvt_f64_f32_e32 v[18:19], v5
	v_lshlrev_b32_e32 v5, v29, v27
	v_cmp_eq_u32_e32 vcc_lo, 0x40f, v28
	v_lshrrev_b32_e32 v29, 8, v22
	s_wait_alu 0xfffd
	v_cndmask_b32_e32 v10, v10, v30, vcc_lo
	v_cmp_ne_u32_e32 vcc_lo, v5, v26
	v_add_nc_u32_e32 v26, 0xfffffc10, v31
	s_delay_alu instid0(VALU_DEP_3) | instskip(SKIP_3) | instid1(VALU_DEP_3)
	v_and_or_b32 v10, 0x8000, v25, v10
	s_wait_alu 0xfffd
	v_cndmask_b32_e64 v5, 0, 1, vcc_lo
	v_cmp_ne_u32_e32 vcc_lo, 0, v21
	v_lshl_or_b32 v1, v10, 16, v3
	s_delay_alu instid0(VALU_DEP_3) | instskip(SKIP_4) | instid1(VALU_DEP_3)
	v_or_b32_e32 v5, v27, v5
	s_wait_alu 0xfffd
	v_cndmask_b32_e64 v28, 0, 1, vcc_lo
	v_cmp_gt_i32_e32 vcc_lo, 1, v26
	v_lshrrev_b32_e32 v10, 16, v9
	v_and_or_b32 v25, 0xffe, v29, v28
	s_clause 0x1
	scratch_load_b32 v29, off, off offset:68 th:TH_LOAD_LU
	scratch_load_b32 v28, off, off offset:48 th:TH_LOAD_LU
	v_mul_f64_e32 v[20:21], s[8:9], v[23:24]
	v_bfe_u32 v23, v22, 20, 11
	v_lshl_or_b32 v24, v26, 12, v12
	s_delay_alu instid0(VALU_DEP_2) | instskip(SKIP_1) | instid1(VALU_DEP_2)
	v_sub_nc_u32_e32 v27, 0x3f1, v23
	s_wait_alu 0xfffd
	v_cndmask_b32_e32 v5, v24, v5, vcc_lo
	v_or_b32_e32 v24, 0x1000, v25
	v_add_co_u32 v14, vcc_lo, v16, s2
	v_med3_i32 v27, v27, 0, 13
	s_delay_alu instid0(VALU_DEP_4)
	v_and_b32_e32 v3, 7, v5
	s_wait_alu 0xfffd
	v_add_co_ci_u32_e32 v15, vcc_lo, s3, v17, vcc_lo
	v_mul_f64_e32 v[16:17], s[8:9], v[18:19]
	v_lshrrev_b32_e32 v7, v27, v24
	v_cmp_lt_i32_e32 vcc_lo, 5, v3
	v_cmp_eq_u32_e64 s0, 3, v3
	v_lshrrev_b32_e32 v5, 2, v5
	v_add_nc_u32_e32 v23, 0xfffffc10, v23
	v_lshlrev_b32_e32 v27, v27, v7
	global_store_b32 v[14:15], v1, off
	s_or_b32 vcc_lo, s0, vcc_lo
	s_wait_alu 0xfffe
	v_add_co_ci_u32_e32 v5, vcc_lo, 0, v5, vcc_lo
	v_cmp_ne_u32_e64 s1, v27, v24
	v_cmp_ne_u32_e32 vcc_lo, 0, v12
	v_lshl_or_b32 v24, v23, 12, v25
	s_wait_alu 0xf1ff
	s_delay_alu instid0(VALU_DEP_3) | instskip(SKIP_3) | instid1(VALU_DEP_3)
	v_cndmask_b32_e64 v18, 0, 1, s1
	s_wait_alu 0xfffd
	v_cndmask_b32_e64 v12, 0, 1, vcc_lo
	v_cmp_gt_i32_e32 vcc_lo, 1, v23
	v_or_b32_e32 v7, v7, v18
	v_and_or_b32 v20, 0x1ff, v21, v20
	s_delay_alu instid0(VALU_DEP_4) | instskip(SKIP_3) | instid1(VALU_DEP_1)
	v_lshl_or_b32 v12, v12, 9, 0x7c00
	s_wait_loadcnt 0x1
	v_mul_f16_e32 v3, v29, v10
	s_wait_loadcnt 0x0
	v_fmac_f16_e32 v3, v28, v9
	v_mul_f16_e32 v9, v29, v9
	s_delay_alu instid0(VALU_DEP_2) | instskip(NEXT) | instid1(VALU_DEP_2)
	v_cvt_f32_f16_e32 v3, v3
	v_fma_f16 v9, v28, v10, -v9
	v_lshrrev_b32_e32 v10, 8, v17
	s_delay_alu instid0(VALU_DEP_3)
	v_cvt_f64_f32_e32 v[18:19], v3
	s_wait_alu 0xfffd
	v_cndmask_b32_e32 v3, v24, v7, vcc_lo
	v_cmp_ne_u32_e32 vcc_lo, 0, v20
	v_lshrrev_b32_e32 v20, 8, v21
	v_bfe_u32 v24, v21, 20, 11
	v_lshrrev_b32_e32 v21, 16, v21
	v_and_b32_e32 v27, 7, v3
	s_wait_alu 0xfffd
	v_cndmask_b32_e64 v7, 0, 1, vcc_lo
	v_cmp_gt_i32_e32 vcc_lo, 31, v26
	v_lshrrev_b32_e32 v3, 2, v3
	v_cmp_eq_u32_e64 s0, 3, v27
	s_delay_alu instid0(VALU_DEP_4)
	v_and_or_b32 v7, 0xffe, v20, v7
	s_wait_alu 0xfffd
	v_cndmask_b32_e32 v5, 0x7c00, v5, vcc_lo
	v_sub_nc_u32_e32 v20, 0x3f1, v24
	v_cmp_eq_u32_e32 vcc_lo, 0x40f, v26
	v_lshrrev_b32_e32 v26, 16, v13
	v_and_or_b32 v13, 0x1ff, v17, v16
	v_add_nc_u32_e32 v24, 0xfffffc10, v24
	v_med3_i32 v20, v20, 0, 13
	s_wait_alu 0xfffd
	v_cndmask_b32_e32 v5, v5, v12, vcc_lo
	v_or_b32_e32 v12, 0x1000, v7
	v_cmp_lt_i32_e32 vcc_lo, 5, v27
	s_delay_alu instid0(VALU_DEP_3) | instskip(NEXT) | instid1(VALU_DEP_3)
	v_and_or_b32 v5, 0x8000, v26, v5
	v_lshrrev_b32_e32 v27, v20, v12
	s_or_b32 vcc_lo, s0, vcc_lo
	scratch_load_b32 v26, off, off offset:40 th:TH_LOAD_LU ; 4-byte Folded Reload
	s_wait_alu 0xfffe
	v_add_co_ci_u32_e32 v3, vcc_lo, 0, v3, vcc_lo
	v_lshlrev_b32_e32 v16, v20, v27
	v_cmp_ne_u32_e32 vcc_lo, 0, v13
	v_bfe_u32 v20, v17, 20, 11
	s_wait_alu 0xfffd
	v_cndmask_b32_e64 v13, 0, 1, vcc_lo
	v_cmp_ne_u32_e32 vcc_lo, v16, v12
	v_cvt_f32_f16_e32 v12, v9
	v_sub_nc_u32_e32 v29, 0x3f1, v20
	v_add_nc_u32_e32 v20, 0xfffffc10, v20
	v_and_or_b32 v28, 0xffe, v10, v13
	s_wait_alu 0xfffd
	v_cndmask_b32_e64 v16, 0, 1, vcc_lo
	v_cmp_ne_u32_e32 vcc_lo, 0, v25
	v_mul_f64_e32 v[9:10], s[8:9], v[18:19]
	v_lshl_or_b32 v19, v24, 12, v7
	v_or_b32_e32 v25, 0x1000, v28
	v_or_b32_e32 v16, v27, v16
	s_wait_alu 0xfffd
	v_cndmask_b32_e64 v18, 0, 1, vcc_lo
	v_cmp_gt_i32_e32 vcc_lo, 31, v23
	v_med3_i32 v27, v29, 0, 13
	v_cvt_f64_f32_e32 v[12:13], v12
	s_delay_alu instid0(VALU_DEP_4)
	v_lshl_or_b32 v18, v18, 9, 0x7c00
	s_wait_alu 0xfffd
	v_cndmask_b32_e32 v3, 0x7c00, v3, vcc_lo
	v_cmp_gt_i32_e32 vcc_lo, 1, v24
	s_wait_alu 0xfffd
	v_cndmask_b32_e32 v16, v19, v16, vcc_lo
	v_lshrrev_b32_e32 v19, v27, v25
	v_cmp_eq_u32_e32 vcc_lo, 0x40f, v23
	s_delay_alu instid0(VALU_DEP_2)
	v_lshlrev_b32_e32 v23, v27, v19
	scratch_load_b32 v27, off, off offset:60 th:TH_LOAD_LU ; 4-byte Folded Reload
	s_wait_alu 0xfffd
	v_cndmask_b32_e32 v3, v3, v18, vcc_lo
	v_lshrrev_b32_e32 v18, 16, v22
	v_and_b32_e32 v22, 7, v16
	v_cmp_ne_u32_e64 s0, v23, v25
	s_delay_alu instid0(VALU_DEP_3) | instskip(SKIP_1) | instid1(VALU_DEP_4)
	v_and_or_b32 v1, 0x8000, v18, v3
	v_and_b32_e32 v3, 0xffff, v5
	v_cmp_lt_i32_e32 vcc_lo, 5, v22
	s_wait_alu 0xf1ff
	v_cndmask_b32_e64 v5, 0, 1, s0
	v_cmp_eq_u32_e64 s0, 3, v22
	v_lshl_or_b32 v1, v1, 16, v3
	v_lshrrev_b32_e32 v3, 2, v16
	s_delay_alu instid0(VALU_DEP_4) | instskip(NEXT) | instid1(VALU_DEP_4)
	v_or_b32_e32 v5, v19, v5
	s_or_b32 vcc_lo, s0, vcc_lo
	v_lshl_or_b32 v16, v20, 12, v28
	v_and_or_b32 v9, 0x1ff, v10, v9
	s_wait_alu 0xfffe
	v_add_co_ci_u32_e32 v3, vcc_lo, 0, v3, vcc_lo
	v_cmp_ne_u32_e32 vcc_lo, 0, v7
	v_mul_f64_e32 v[12:13], s[8:9], v[12:13]
	v_lshrrev_b32_e32 v22, 8, v10
	v_bfe_u32 v23, v10, 20, 11
	s_wait_alu 0xfffd
	v_cndmask_b32_e64 v7, 0, 1, vcc_lo
	v_cmp_gt_i32_e32 vcc_lo, 1, v20
	s_delay_alu instid0(VALU_DEP_2)
	v_lshl_or_b32 v7, v7, 9, 0x7c00
	s_wait_alu 0xfffd
	v_cndmask_b32_e32 v5, v16, v5, vcc_lo
	v_cmp_gt_i32_e32 vcc_lo, 31, v24
	v_lshrrev_b32_e32 v16, 16, v4
	s_wait_alu 0xfffd
	s_delay_alu instid0(VALU_DEP_3) | instskip(SKIP_2) | instid1(VALU_DEP_3)
	v_dual_cndmask_b32 v3, 0x7c00, v3 :: v_dual_and_b32 v18, 7, v5
	v_cmp_ne_u32_e32 vcc_lo, 0, v9
	v_lshrrev_b32_e32 v5, 2, v5
	v_cmp_eq_u32_e64 s0, 3, v18
	s_wait_alu 0xfffd
	v_cndmask_b32_e64 v9, 0, 1, vcc_lo
	v_cmp_eq_u32_e32 vcc_lo, 0x40f, v24
	s_wait_alu 0xfffd
	v_cndmask_b32_e32 v3, v3, v7, vcc_lo
	v_cmp_lt_i32_e32 vcc_lo, 5, v18
	v_and_or_b32 v7, 0xffe, v22, v9
	v_sub_nc_u32_e32 v9, 0x3f1, v23
	s_delay_alu instid0(VALU_DEP_4) | instskip(SKIP_1) | instid1(VALU_DEP_3)
	v_and_or_b32 v21, 0x8000, v21, v3
	s_or_b32 vcc_lo, s0, vcc_lo
	v_or_b32_e32 v22, 0x1000, v7
	s_wait_alu 0xfffe
	v_add_co_ci_u32_e32 v5, vcc_lo, 0, v5, vcc_lo
	v_cmp_ne_u32_e32 vcc_lo, 0, v28
	scratch_load_b32 v28, off, off offset:52 th:TH_LOAD_LU ; 4-byte Folded Reload
	v_med3_i32 v9, v9, 0, 13
	v_and_or_b32 v12, 0x1ff, v13, v12
	v_and_b32_e32 v21, 0xffff, v21
	s_wait_alu 0xfffd
	v_cndmask_b32_e64 v24, 0, 1, vcc_lo
	v_cmp_gt_i32_e32 vcc_lo, 31, v20
	v_lshrrev_b32_e32 v25, v9, v22
	s_delay_alu instid0(VALU_DEP_3)
	v_lshl_or_b32 v24, v24, 9, 0x7c00
	s_wait_alu 0xfffd
	v_cndmask_b32_e32 v5, 0x7c00, v5, vcc_lo
	v_cmp_eq_u32_e32 vcc_lo, 0x40f, v20
	v_bfe_u32 v20, v13, 20, 11
	s_wait_alu 0xfffd
	s_delay_alu instid0(VALU_DEP_3)
	v_cndmask_b32_e32 v5, v5, v24, vcc_lo
	s_wait_loadcnt 0x1
	v_mul_f16_e32 v19, v27, v16
	v_mul_f16_e32 v3, v27, v4
	scratch_load_b32 v27, off, off offset:36 th:TH_LOAD_LU ; 4-byte Folded Reload
	v_fmac_f16_e32 v19, v26, v4
	v_lshlrev_b32_e32 v4, v9, v25
	v_fma_f16 v3, v26, v16, -v3
	v_lshrrev_b32_e32 v9, 16, v17
	v_lshrrev_b32_e32 v17, 8, v13
	v_cvt_f32_f16_e32 v19, v19
	v_cmp_ne_u32_e32 vcc_lo, v4, v22
	v_cvt_f32_f16_e32 v3, v3
	v_add_nc_u32_e32 v22, 0xfffffc10, v23
	v_and_or_b32 v5, 0x8000, v9, v5
	v_cvt_f64_f32_e32 v[18:19], v19
	s_wait_alu 0xfffd
	v_cndmask_b32_e64 v16, 0, 1, vcc_lo
	v_cmp_ne_u32_e32 vcc_lo, 0, v12
	v_cvt_f64_f32_e32 v[3:4], v3
	v_lshl_or_b32 v5, v5, 16, v21
	v_lshrrev_b32_e32 v26, 16, v8
	v_or_b32_e32 v9, v25, v16
	s_wait_alu 0xfffd
	v_cndmask_b32_e64 v12, 0, 1, vcc_lo
	v_lshl_or_b32 v16, v22, 12, v7
	v_cmp_gt_i32_e32 vcc_lo, 1, v22
	v_lshrrev_b32_e32 v13, 16, v13
	s_delay_alu instid0(VALU_DEP_4)
	v_and_or_b32 v12, 0xffe, v17, v12
	v_sub_nc_u32_e32 v17, 0x3f1, v20
	s_wait_alu 0xfffd
	v_cndmask_b32_e32 v9, v16, v9, vcc_lo
	v_add_co_u32 v14, vcc_lo, v14, s2
	v_or_b32_e32 v23, 0x1000, v12
	v_med3_i32 v24, v17, 0, 13
	s_wait_alu 0xfffd
	v_add_co_ci_u32_e32 v15, vcc_lo, s3, v15, vcc_lo
	v_and_b32_e32 v21, 7, v9
	v_lshrrev_b32_e32 v9, 2, v9
	v_lshrrev_b32_e32 v25, v24, v23
	s_delay_alu instid0(VALU_DEP_3) | instskip(NEXT) | instid1(VALU_DEP_2)
	v_cmp_eq_u32_e64 s0, 3, v21
	v_lshlrev_b32_e32 v24, v24, v25
	s_delay_alu instid0(VALU_DEP_1)
	v_cmp_ne_u32_e64 s1, v24, v23
	v_add_nc_u32_e32 v23, 0xfffffc10, v20
	v_mul_f64_e32 v[16:17], s[8:9], v[18:19]
	v_add_co_u32 v18, vcc_lo, v14, s2
	s_wait_alu 0xfffd
	v_add_co_ci_u32_e32 v19, vcc_lo, s3, v15, vcc_lo
	v_cmp_lt_i32_e32 vcc_lo, 5, v21
	s_wait_alu 0xf1ff
	v_cndmask_b32_e64 v21, 0, 1, s1
	v_mul_f64_e32 v[3:4], s[8:9], v[3:4]
	s_wait_loadcnt 0x1
	v_mul_f16_e32 v20, v28, v26
	v_lshl_or_b32 v24, v23, 12, v12
	s_or_b32 vcc_lo, s0, vcc_lo
	v_or_b32_e32 v21, v25, v21
	s_wait_alu 0xfffe
	v_add_co_ci_u32_e32 v9, vcc_lo, 0, v9, vcc_lo
	v_cmp_ne_u32_e32 vcc_lo, 0, v7
	global_store_b32 v[14:15], v1, off
	global_store_b32 v[18:19], v5, off
	s_wait_alu 0xfffd
	v_cndmask_b32_e64 v7, 0, 1, vcc_lo
	v_cmp_gt_i32_e32 vcc_lo, 1, v23
	s_delay_alu instid0(VALU_DEP_2) | instskip(SKIP_3) | instid1(VALU_DEP_2)
	v_lshl_or_b32 v7, v7, 9, 0x7c00
	s_wait_alu 0xfffd
	v_cndmask_b32_e32 v24, v24, v21, vcc_lo
	v_cmp_gt_i32_e32 vcc_lo, 31, v22
	v_and_b32_e32 v25, 7, v24
	s_wait_alu 0xfffd
	v_cndmask_b32_e32 v9, 0x7c00, v9, vcc_lo
	v_cmp_eq_u32_e32 vcc_lo, 0x40f, v22
	s_wait_alu 0xfffd
	s_delay_alu instid0(VALU_DEP_2) | instskip(SKIP_3) | instid1(VALU_DEP_3)
	v_cndmask_b32_e32 v7, v9, v7, vcc_lo
	v_and_or_b32 v16, 0x1ff, v17, v16
	v_lshrrev_b32_e32 v9, 16, v10
	v_cmp_lt_i32_e32 vcc_lo, 5, v25
	v_cmp_ne_u32_e64 s0, 0, v16
	s_delay_alu instid0(VALU_DEP_3)
	v_and_or_b32 v22, 0x8000, v9, v7
	v_lshrrev_b32_e32 v7, 2, v24
	v_lshrrev_b32_e32 v16, 8, v17
	v_bfe_u32 v24, v17, 20, 11
	s_wait_alu 0xf1ff
	v_cndmask_b32_e64 v10, 0, 1, s0
	v_cmp_eq_u32_e64 s0, 3, v25
	v_and_or_b32 v3, 0x1ff, v4, v3
	v_and_b32_e32 v22, 0xffff, v22
	v_sub_nc_u32_e32 v9, 0x3f1, v24
	v_and_or_b32 v16, 0xffe, v16, v10
	s_or_b32 vcc_lo, s0, vcc_lo
	v_lshrrev_b32_e32 v17, 16, v17
	s_wait_alu 0xfffe
	v_add_co_ci_u32_e32 v7, vcc_lo, 0, v7, vcc_lo
	v_cmp_ne_u32_e32 vcc_lo, 0, v12
	v_or_b32_e32 v12, 0x1000, v16
	v_med3_i32 v9, v9, 0, 13
	s_wait_alu 0xfffd
	v_cndmask_b32_e64 v10, 0, 1, vcc_lo
	v_cmp_gt_i32_e32 vcc_lo, 31, v23
	s_delay_alu instid0(VALU_DEP_3) | instskip(NEXT) | instid1(VALU_DEP_3)
	v_lshrrev_b32_e32 v25, v9, v12
	v_lshl_or_b32 v10, v10, 9, 0x7c00
	s_wait_alu 0xfffd
	v_cndmask_b32_e32 v7, 0x7c00, v7, vcc_lo
	v_cmp_eq_u32_e32 vcc_lo, 0x40f, v23
	s_wait_alu 0xfffd
	s_delay_alu instid0(VALU_DEP_2) | instskip(SKIP_1) | instid1(VALU_DEP_2)
	v_cndmask_b32_e32 v23, v7, v10, vcc_lo
	v_cmp_ne_u32_e32 vcc_lo, 0, v3
	v_and_or_b32 v13, 0x8000, v13, v23
	s_wait_alu 0xfffd
	v_cndmask_b32_e64 v3, 0, 1, vcc_lo
	s_delay_alu instid0(VALU_DEP_2) | instskip(SKIP_4) | instid1(VALU_DEP_2)
	v_lshl_or_b32 v5, v13, 16, v22
	v_lshrrev_b32_e32 v22, 16, v2
	s_wait_loadcnt 0x0
	v_fmac_f16_e32 v20, v27, v8
	v_mul_f16_e32 v8, v28, v8
	v_cvt_f32_f16_e32 v20, v20
	s_delay_alu instid0(VALU_DEP_2) | instskip(SKIP_2) | instid1(VALU_DEP_4)
	v_fma_f16 v8, v27, v26, -v8
	v_lshlrev_b32_e32 v26, v9, v25
	v_lshrrev_b32_e32 v27, 8, v4
	v_cvt_f64_f32_e32 v[20:21], v20
	s_delay_alu instid0(VALU_DEP_4) | instskip(NEXT) | instid1(VALU_DEP_4)
	v_cvt_f32_f16_e32 v7, v8
	v_cmp_ne_u32_e32 vcc_lo, v26, v12
	s_delay_alu instid0(VALU_DEP_4)
	v_and_or_b32 v3, 0xffe, v27, v3
	scratch_load_b32 v27, off, off offset:44 th:TH_LOAD_LU ; 4-byte Folded Reload
	v_cvt_f64_f32_e32 v[7:8], v7
	s_wait_alu 0xfffd
	v_cndmask_b32_e64 v12, 0, 1, vcc_lo
	v_or_b32_e32 v26, 0x1000, v3
	s_delay_alu instid0(VALU_DEP_2) | instskip(SKIP_4) | instid1(VALU_DEP_3)
	v_or_b32_e32 v12, v25, v12
	v_mul_f64_e32 v[9:10], s[8:9], v[20:21]
	v_bfe_u32 v20, v4, 20, 11
	v_add_nc_u32_e32 v21, 0xfffffc10, v24
	v_lshrrev_b32_e32 v4, 16, v4
	v_sub_nc_u32_e32 v24, 0x3f1, v20
	s_delay_alu instid0(VALU_DEP_3)
	v_lshl_or_b32 v25, v21, 12, v16
	v_cmp_gt_i32_e32 vcc_lo, 1, v21
	v_mul_f64_e32 v[7:8], s[8:9], v[7:8]
	v_cmp_eq_u32_e64 s1, 0x40f, v21
	v_med3_i32 v24, v24, 0, 13
	s_wait_alu 0xfffd
	v_cndmask_b32_e32 v23, v25, v12, vcc_lo
	v_add_co_u32 v12, vcc_lo, v18, s2
	s_delay_alu instid0(VALU_DEP_3)
	v_lshrrev_b32_e32 v25, v24, v26
	s_wait_alu 0xfffd
	v_add_co_ci_u32_e32 v13, vcc_lo, s3, v19, vcc_lo
	v_and_b32_e32 v1, 7, v23
	v_add_nc_u32_e32 v18, 0xfffffc10, v20
	v_lshlrev_b32_e32 v14, v24, v25
	global_store_b32 v[12:13], v5, off
	v_cmp_lt_i32_e32 vcc_lo, 5, v1
	v_lshl_or_b32 v19, v18, 12, v3
	v_cmp_ne_u32_e64 s0, v14, v26
	scratch_load_b32 v26, off, off offset:28 th:TH_LOAD_LU ; 4-byte Folded Reload
	s_wait_alu 0xf1ff
	v_cndmask_b32_e64 v14, 0, 1, s0
	v_cmp_eq_u32_e64 s0, 3, v1
	v_lshrrev_b32_e32 v1, 2, v23
	s_delay_alu instid0(VALU_DEP_3) | instskip(NEXT) | instid1(VALU_DEP_3)
	v_or_b32_e32 v14, v25, v14
	s_or_b32 vcc_lo, s0, vcc_lo
	v_and_or_b32 v9, 0x1ff, v10, v9
	s_wait_alu 0xfffe
	v_add_co_ci_u32_e32 v1, vcc_lo, 0, v1, vcc_lo
	v_cmp_gt_i32_e32 vcc_lo, 1, v18
	v_lshrrev_b32_e32 v20, 8, v10
	v_bfe_u32 v23, v10, 20, 11
	v_lshrrev_b32_e32 v10, 16, v10
	s_wait_alu 0xfffd
	v_cndmask_b32_e32 v19, v19, v14, vcc_lo
	v_cmp_ne_u32_e32 vcc_lo, 0, v9
	s_delay_alu instid0(VALU_DEP_2)
	v_and_b32_e32 v24, 7, v19
	s_wait_alu 0xfffd
	v_cndmask_b32_e64 v9, 0, 1, vcc_lo
	v_cmp_ne_u32_e32 vcc_lo, 0, v16
	v_lshrrev_b32_e32 v19, 2, v19
	v_cmp_eq_u32_e64 s0, 3, v24
	s_delay_alu instid0(VALU_DEP_4)
	v_and_or_b32 v9, 0xffe, v20, v9
	v_sub_nc_u32_e32 v20, 0x3f1, v23
	s_wait_alu 0xfffd
	v_cndmask_b32_e64 v16, 0, 1, vcc_lo
	v_cmp_gt_i32_e32 vcc_lo, 31, v21
	v_or_b32_e32 v25, 0x1000, v9
	v_med3_i32 v20, v20, 0, 13
	s_delay_alu instid0(VALU_DEP_4)
	v_lshl_or_b32 v16, v16, 9, 0x7c00
	s_wait_alu 0xfffd
	v_cndmask_b32_e32 v1, 0x7c00, v1, vcc_lo
	v_cmp_lt_i32_e32 vcc_lo, 5, v24
	v_lshrrev_b32_e32 v24, 8, v8
	v_lshrrev_b32_e32 v21, v20, v25
	s_delay_alu instid0(VALU_DEP_4)
	v_cndmask_b32_e64 v16, v1, v16, s1
	s_or_b32 vcc_lo, s0, vcc_lo
	s_wait_alu 0xfffe
	v_add_co_ci_u32_e32 v1, vcc_lo, 0, v19, vcc_lo
	v_lshlrev_b32_e32 v19, v20, v21
	v_cmp_gt_i32_e32 vcc_lo, 31, v18
	v_and_or_b32 v16, 0x8000, v17, v16
	s_wait_alu 0xfffd
	v_cndmask_b32_e32 v20, 0x7c00, v1, vcc_lo
	v_cmp_ne_u32_e32 vcc_lo, v19, v25
	v_add_nc_u32_e32 v19, 0xfffffc10, v23
	v_bfe_u32 v25, v8, 20, 11
	v_and_b32_e32 v16, 0xffff, v16
	s_wait_loadcnt 0x1
	v_mul_f16_e32 v15, v27, v22
	s_wait_loadcnt 0x0
	s_delay_alu instid0(VALU_DEP_1) | instskip(SKIP_1) | instid1(VALU_DEP_2)
	v_fmac_f16_e32 v15, v26, v2
	v_mul_f16_e32 v2, v27, v2
	v_cvt_f32_f16_e32 v15, v15
	s_delay_alu instid0(VALU_DEP_2)
	v_fma_f16 v1, v26, v22, -v2
	v_and_or_b32 v2, 0x1ff, v8, v7
	s_wait_alu 0xfffd
	v_cndmask_b32_e64 v7, 0, 1, vcc_lo
	scratch_load_b32 v26, off, off offset:12 th:TH_LOAD_LU ; 4-byte Folded Reload
	v_cvt_f64_f32_e32 v[14:15], v15
	v_cvt_f32_f16_e32 v22, v1
	v_cmp_ne_u32_e32 vcc_lo, 0, v2
	v_or_b32_e32 v7, v21, v7
	v_lshl_or_b32 v21, v19, 12, v9
	s_wait_alu 0xfffd
	v_cndmask_b32_e64 v23, 0, 1, vcc_lo
	v_cmp_ne_u32_e32 vcc_lo, 0, v3
	s_wait_alu 0xfffd
	v_cndmask_b32_e64 v3, 0, 1, vcc_lo
	v_cmp_gt_i32_e32 vcc_lo, 1, v19
	s_delay_alu instid0(VALU_DEP_2) | instskip(SKIP_3) | instid1(VALU_DEP_2)
	v_lshl_or_b32 v3, v3, 9, 0x7c00
	s_wait_alu 0xfffd
	v_cndmask_b32_e32 v7, v21, v7, vcc_lo
	v_cmp_eq_u32_e32 vcc_lo, 0x40f, v18
	v_and_b32_e32 v17, 7, v7
	s_wait_alu 0xfffd
	v_cndmask_b32_e32 v3, v20, v3, vcc_lo
	s_delay_alu instid0(VALU_DEP_2) | instskip(NEXT) | instid1(VALU_DEP_2)
	v_cmp_lt_i32_e32 vcc_lo, 5, v17
	v_and_or_b32 v5, 0x8000, v4, v3
	v_lshrrev_b32_e32 v4, 2, v7
	v_add_nc_u32_e32 v7, 0xfffffc10, v25
	v_cmp_eq_u32_e64 s0, 3, v17
	s_delay_alu instid0(VALU_DEP_4)
	v_lshl_or_b32 v5, v5, 16, v16
	v_mul_f64_e32 v[1:2], s[8:9], v[14:15]
	v_cvt_f64_f32_e32 v[14:15], v22
	v_and_or_b32 v22, 0xffe, v24, v23
	v_sub_nc_u32_e32 v23, 0x3f1, v25
	scratch_load_b32 v25, off, off offset:20 th:TH_LOAD_LU ; 4-byte Folded Reload
	s_or_b32 vcc_lo, s0, vcc_lo
	v_or_b32_e32 v24, 0x1000, v22
	v_med3_i32 v23, v23, 0, 13
	s_wait_alu 0xfffe
	v_add_co_ci_u32_e32 v17, vcc_lo, 0, v4, vcc_lo
	v_cmp_ne_u32_e32 vcc_lo, 0, v9
	v_lshl_or_b32 v4, v7, 12, v22
	v_lshrrev_b32_e32 v18, v23, v24
	s_wait_alu 0xfffd
	v_cndmask_b32_e64 v9, 0, 1, vcc_lo
	v_cmp_gt_i32_e32 vcc_lo, 1, v7
	s_delay_alu instid0(VALU_DEP_3) | instskip(NEXT) | instid1(VALU_DEP_3)
	v_lshlrev_b32_e32 v3, v23, v18
	v_lshl_or_b32 v9, v9, 9, 0x7c00
	s_delay_alu instid0(VALU_DEP_2) | instskip(SKIP_4) | instid1(VALU_DEP_2)
	v_cmp_ne_u32_e64 s1, v3, v24
	scratch_load_b32 v24, off, off offset:32 th:TH_LOAD_LU ; 4-byte Folded Reload
	s_wait_alu 0xf1ff
	v_cndmask_b32_e64 v3, 0, 1, s1
	v_cmp_eq_u32_e64 s1, 0x40f, v19
	v_or_b32_e32 v3, v18, v3
	v_lshrrev_b32_e32 v18, 16, v11
	s_wait_alu 0xfffd
	s_delay_alu instid0(VALU_DEP_2)
	v_cndmask_b32_e32 v20, v4, v3, vcc_lo
	v_and_or_b32 v1, 0x1ff, v2, v1
	v_cmp_gt_i32_e32 vcc_lo, 31, v19
	v_mul_f64_e32 v[3:4], s[8:9], v[14:15]
	v_lshrrev_b32_e32 v21, 8, v2
	v_and_b32_e32 v15, 7, v20
	v_bfe_u32 v23, v2, 20, 11
	s_wait_alu 0xfffd
	v_cndmask_b32_e32 v17, 0x7c00, v17, vcc_lo
	v_cmp_ne_u32_e32 vcc_lo, 0, v1
	v_lshrrev_b32_e32 v2, 16, v2
	v_cmp_eq_u32_e64 s0, 3, v15
	s_wait_alu 0xf1ff
	v_cndmask_b32_e64 v9, v17, v9, s1
	s_wait_alu 0xfffd
	v_cndmask_b32_e64 v1, 0, 1, vcc_lo
	v_cmp_lt_i32_e32 vcc_lo, 5, v15
	v_lshrrev_b32_e32 v17, 2, v20
	s_delay_alu instid0(VALU_DEP_3)
	v_and_or_b32 v1, 0xffe, v21, v1
	s_or_b32 vcc_lo, s0, vcc_lo
	v_sub_nc_u32_e32 v21, 0x3f1, v23
	s_wait_alu 0xfffe
	v_add_co_ci_u32_e32 v17, vcc_lo, 0, v17, vcc_lo
	v_cmp_ne_u32_e32 vcc_lo, 0, v22
	v_or_b32_e32 v19, 0x1000, v1
	v_med3_i32 v20, v21, 0, 13
	s_wait_alu 0xfffd
	v_cndmask_b32_e64 v21, 0, 1, vcc_lo
	v_cmp_gt_i32_e32 vcc_lo, 31, v7
	s_delay_alu instid0(VALU_DEP_3) | instskip(NEXT) | instid1(VALU_DEP_3)
	v_lshrrev_b32_e32 v22, v20, v19
	v_lshl_or_b32 v21, v21, 9, 0x7c00
	s_wait_alu 0xfffd
	v_cndmask_b32_e32 v17, 0x7c00, v17, vcc_lo
	v_cmp_eq_u32_e32 vcc_lo, 0x40f, v7
	s_wait_alu 0xfffd
	s_delay_alu instid0(VALU_DEP_2) | instskip(SKIP_2) | instid1(VALU_DEP_1)
	v_cndmask_b32_e32 v17, v17, v21, vcc_lo
	v_and_or_b32 v3, 0x1ff, v4, v3
	v_lshrrev_b32_e32 v21, 16, v8
	v_and_or_b32 v16, 0x8000, v21, v17
	s_wait_loadcnt 0x0
	v_mul_f16_e32 v14, v24, v18
	s_delay_alu instid0(VALU_DEP_1)
	v_fmac_f16_e32 v14, v25, v11
	v_mul_f16_e32 v11, v24, v11
	v_and_or_b32 v24, 0x8000, v10, v9
	v_lshlrev_b32_e32 v9, v20, v22
	v_bfe_u32 v20, v4, 20, 11
	v_cvt_f32_f16_e32 v14, v14
	v_fma_f16 v7, v25, v18, -v11
	scratch_load_b32 v25, off, off offset:24 th:TH_LOAD_LU ; 4-byte Folded Reload
	v_cmp_ne_u32_e32 vcc_lo, v9, v19
	v_add_nc_u32_e32 v18, 0xfffffc10, v23
	v_cvt_f64_f32_e32 v[14:15], v14
	v_cvt_f32_f16_e32 v7, v7
	v_lshrrev_b32_e32 v19, 8, v4
	s_wait_alu 0xfffd
	v_cndmask_b32_e64 v11, 0, 1, vcc_lo
	v_cmp_ne_u32_e32 vcc_lo, 0, v3
	v_and_b32_e32 v17, 0xffff, v24
	v_cvt_f64_f32_e32 v[9:10], v7
	v_lshrrev_b32_e32 v4, 16, v4
	v_or_b32_e32 v7, v22, v11
	s_wait_alu 0xfffd
	v_cndmask_b32_e64 v3, 0, 1, vcc_lo
	v_lshl_or_b32 v11, v18, 12, v1
	v_cmp_gt_i32_e32 vcc_lo, 1, v18
	v_lshl_or_b32 v17, v16, 16, v17
	s_delay_alu instid0(VALU_DEP_4)
	v_and_or_b32 v3, 0xffe, v19, v3
	v_sub_nc_u32_e32 v19, 0x3f1, v20
	s_wait_alu 0xfffd
	v_cndmask_b32_e32 v22, v11, v7, vcc_lo
	v_add_co_u32 v11, vcc_lo, v12, s4
	s_wait_alu 0xfffd
	v_add_co_ci_u32_e32 v12, vcc_lo, s5, v13, vcc_lo
	v_add_nc_u32_e32 v20, 0xfffffc10, v20
	s_delay_alu instid0(VALU_DEP_1)
	v_lshl_or_b32 v16, v20, 12, v3
	v_mul_f64_e32 v[7:8], s[8:9], v[14:15]
	v_or_b32_e32 v14, 0x1000, v3
	v_med3_i32 v15, v19, 0, 13
	v_and_b32_e32 v19, 7, v22
	v_mul_f64_e32 v[9:10], s[8:9], v[9:10]
	s_delay_alu instid0(VALU_DEP_3) | instskip(NEXT) | instid1(VALU_DEP_3)
	v_lshrrev_b32_e32 v21, v15, v14
	v_cmp_lt_i32_e32 vcc_lo, 5, v19
	v_cmp_eq_u32_e64 s0, 3, v19
	v_lshrrev_b32_e32 v19, 16, v0
	s_delay_alu instid0(VALU_DEP_4) | instskip(SKIP_1) | instid1(VALU_DEP_4)
	v_lshlrev_b32_e32 v13, v15, v21
	v_lshrrev_b32_e32 v15, 2, v22
	s_or_b32 vcc_lo, s0, vcc_lo
	s_delay_alu instid0(VALU_DEP_2) | instskip(SKIP_1) | instid1(VALU_DEP_2)
	v_cmp_ne_u32_e64 s1, v13, v14
	s_wait_alu 0xfffe
	v_add_co_ci_u32_e32 v15, vcc_lo, 0, v15, vcc_lo
	v_cmp_ne_u32_e32 vcc_lo, 0, v1
	s_wait_alu 0xf1ff
	v_cndmask_b32_e64 v13, 0, 1, s1
	s_wait_alu 0xfffd
	v_cndmask_b32_e64 v1, 0, 1, vcc_lo
	v_cmp_gt_i32_e32 vcc_lo, 1, v20
	s_delay_alu instid0(VALU_DEP_3) | instskip(NEXT) | instid1(VALU_DEP_3)
	v_or_b32_e32 v13, v21, v13
	v_lshl_or_b32 v1, v1, 9, 0x7c00
	s_wait_alu 0xfffd
	s_delay_alu instid0(VALU_DEP_2) | instskip(SKIP_1) | instid1(VALU_DEP_2)
	v_cndmask_b32_e32 v21, v16, v13, vcc_lo
	v_cmp_gt_i32_e32 vcc_lo, 31, v18
	v_and_b32_e32 v23, 7, v21
	v_and_or_b32 v7, 0x1ff, v8, v7
	s_wait_alu 0xfffd
	v_cndmask_b32_e32 v22, 0x7c00, v15, vcc_lo
	v_add_co_u32 v15, vcc_lo, v11, s2
	s_wait_alu 0xfffd
	v_add_co_ci_u32_e32 v16, vcc_lo, s3, v12, vcc_lo
	v_cmp_eq_u32_e32 vcc_lo, 0x40f, v18
	v_cmp_ne_u32_e64 s0, 0, v7
	v_lshrrev_b32_e32 v21, 2, v21
	v_lshrrev_b32_e32 v18, 8, v8
	global_store_b32 v[11:12], v5, off
	global_store_b32 v[15:16], v17, off
	s_wait_alu 0xfffd
	v_cndmask_b32_e32 v1, v22, v1, vcc_lo
	v_cmp_lt_i32_e32 vcc_lo, 5, v23
	s_wait_alu 0xf1ff
	v_cndmask_b32_e64 v7, 0, 1, s0
	v_cmp_eq_u32_e64 s0, 3, v23
	v_bfe_u32 v22, v8, 20, 11
	v_and_or_b32 v24, 0x8000, v2, v1
	v_and_or_b32 v1, 0x1ff, v10, v9
	;; [unrolled: 1-line block ×3, first 2 shown]
	s_or_b32 vcc_lo, s0, vcc_lo
	v_sub_nc_u32_e32 v18, 0x3f1, v22
	s_wait_alu 0xfffe
	v_add_co_ci_u32_e32 v21, vcc_lo, 0, v21, vcc_lo
	v_cmp_ne_u32_e32 vcc_lo, 0, v3
	v_or_b32_e32 v23, 0x1000, v7
	v_med3_i32 v18, v18, 0, 13
	v_lshrrev_b32_e32 v8, 16, v8
	s_wait_alu 0xfffd
	v_cndmask_b32_e64 v3, 0, 1, vcc_lo
	v_cmp_gt_i32_e32 vcc_lo, 31, v20
	v_lshrrev_b32_e32 v2, v18, v23
	s_delay_alu instid0(VALU_DEP_3) | instskip(SKIP_4) | instid1(VALU_DEP_2)
	v_lshl_or_b32 v3, v3, 9, 0x7c00
	s_wait_alu 0xfffd
	v_cndmask_b32_e32 v21, 0x7c00, v21, vcc_lo
	v_cmp_eq_u32_e32 vcc_lo, 0x40f, v20
	s_wait_alu 0xfffd
	v_cndmask_b32_e32 v9, v21, v3, vcc_lo
	v_lshlrev_b32_e32 v3, v18, v2
	v_cmp_ne_u32_e32 vcc_lo, 0, v1
	v_lshrrev_b32_e32 v21, 8, v10
	s_delay_alu instid0(VALU_DEP_4)
	v_and_or_b32 v4, 0x8000, v4, v9
	v_and_b32_e32 v9, 0xffff, v24
	scratch_load_b32 v24, off, off offset:16 th:TH_LOAD_LU ; 4-byte Folded Reload
	s_wait_alu 0xfffd
	v_cndmask_b32_e64 v20, 0, 1, vcc_lo
	v_cmp_ne_u32_e32 vcc_lo, v3, v23
	scratch_load_b32 v23, off, off offset:4 th:TH_LOAD_LU ; 4-byte Folded Reload
	v_lshl_or_b32 v17, v4, 16, v9
	s_wait_alu 0xfffd
	v_cndmask_b32_e64 v3, 0, 1, vcc_lo
	s_wait_loadcnt 0x2
	v_mul_f16_e32 v14, v25, v19
	v_mul_f16_e32 v18, v25, v0
	v_bfe_u32 v25, v10, 20, 11
	v_lshrrev_b32_e32 v10, 16, v10
	s_delay_alu instid0(VALU_DEP_4) | instskip(NEXT) | instid1(VALU_DEP_1)
	v_fmac_f16_e32 v14, v26, v0
	v_cvt_f32_f16_e32 v13, v14
	s_delay_alu instid0(VALU_DEP_1) | instskip(NEXT) | instid1(VALU_DEP_1)
	v_cvt_f64_f32_e32 v[13:14], v13
	v_mul_f64_e32 v[0:1], s[8:9], v[13:14]
	v_fma_f16 v13, v26, v19, -v18
	v_add_nc_u32_e32 v14, 0xfffffc10, v22
	v_and_or_b32 v18, 0xffe, v21, v20
	v_sub_nc_u32_e32 v19, 0x3f1, v25
	v_or_b32_e32 v20, v2, v3
	v_cvt_f32_f16_e32 v13, v13
	v_lshl_or_b32 v21, v14, 12, v7
	v_or_b32_e32 v22, 0x1000, v18
	v_med3_i32 v19, v19, 0, 13
	v_cmp_gt_i32_e32 vcc_lo, 1, v14
	v_cvt_f64_f32_e32 v[2:3], v13
	v_cmp_eq_u32_e64 s1, 0x40f, v14
	s_wait_alu 0xfffd
	v_cndmask_b32_e32 v13, v21, v20, vcc_lo
	v_lshrrev_b32_e32 v20, v19, v22
	v_add_co_u32 v4, vcc_lo, v15, s2
	s_wait_alu 0xfffd
	v_add_co_ci_u32_e32 v5, vcc_lo, s3, v16, vcc_lo
	s_delay_alu instid0(VALU_DEP_3) | instskip(SKIP_3) | instid1(VALU_DEP_4)
	v_lshlrev_b32_e32 v11, v19, v20
	v_and_b32_e32 v9, 7, v13
	v_add_nc_u32_e32 v16, 0xfffffc10, v25
	v_lshrrev_b32_e32 v15, 16, v6
	v_cmp_ne_u32_e64 s0, v11, v22
	s_delay_alu instid0(VALU_DEP_4) | instskip(SKIP_1) | instid1(VALU_DEP_2)
	v_cmp_lt_i32_e32 vcc_lo, 5, v9
	s_wait_alu 0xf1ff
	v_cndmask_b32_e64 v11, 0, 1, s0
	v_cmp_eq_u32_e64 s0, 3, v9
	v_lshrrev_b32_e32 v9, 2, v13
	v_lshl_or_b32 v13, v16, 12, v18
	s_delay_alu instid0(VALU_DEP_4) | instskip(NEXT) | instid1(VALU_DEP_4)
	v_or_b32_e32 v11, v20, v11
	s_or_b32 vcc_lo, s0, vcc_lo
	v_and_or_b32 v0, 0x1ff, v1, v0
	s_wait_alu 0xfffe
	v_add_co_ci_u32_e32 v9, vcc_lo, 0, v9, vcc_lo
	v_cmp_gt_i32_e32 vcc_lo, 1, v16
	v_lshrrev_b32_e32 v19, 8, v1
	v_bfe_u32 v20, v1, 20, 11
	s_wait_alu 0xfffd
	v_cndmask_b32_e32 v13, v13, v11, vcc_lo
	v_cmp_ne_u32_e32 vcc_lo, 0, v0
	v_mul_f64_e32 v[2:3], s[8:9], v[2:3]
	s_delay_alu instid0(VALU_DEP_3)
	v_and_b32_e32 v21, 7, v13
	s_wait_alu 0xfffd
	v_cndmask_b32_e64 v0, 0, 1, vcc_lo
	v_cmp_ne_u32_e32 vcc_lo, 0, v7
	v_lshrrev_b32_e32 v13, 2, v13
	v_cmp_eq_u32_e64 s0, 3, v21
	s_delay_alu instid0(VALU_DEP_4)
	v_and_or_b32 v0, 0xffe, v19, v0
	s_wait_alu 0xfffd
	v_cndmask_b32_e64 v7, 0, 1, vcc_lo
	v_cmp_gt_i32_e32 vcc_lo, 31, v14
	v_sub_nc_u32_e32 v19, 0x3f1, v20
	v_or_b32_e32 v22, 0x1000, v0
	s_delay_alu instid0(VALU_DEP_4) | instskip(SKIP_4) | instid1(VALU_DEP_3)
	v_lshl_or_b32 v7, v7, 9, 0x7c00
	s_wait_alu 0xfffd
	v_cndmask_b32_e32 v9, 0x7c00, v9, vcc_lo
	v_cmp_lt_i32_e32 vcc_lo, 5, v21
	v_med3_i32 v19, v19, 0, 13
	v_cndmask_b32_e64 v7, v9, v7, s1
	s_or_b32 vcc_lo, s0, vcc_lo
	s_delay_alu instid0(VALU_DEP_2)
	v_lshrrev_b32_e32 v9, v19, v22
	s_wait_alu 0xfffe
	v_add_co_ci_u32_e32 v13, vcc_lo, 0, v13, vcc_lo
	v_cmp_ne_u32_e32 vcc_lo, 0, v18
	s_wait_loadcnt 0x1
	v_mul_f16_e32 v12, v24, v15
	v_lshlrev_b32_e32 v18, v19, v9
	v_and_or_b32 v19, 0x8000, v8, v7
	s_wait_alu 0xfffd
	v_cndmask_b32_e64 v14, 0, 1, vcc_lo
	v_cmp_gt_i32_e32 vcc_lo, 31, v16
	s_delay_alu instid0(VALU_DEP_3) | instskip(NEXT) | instid1(VALU_DEP_3)
	v_and_b32_e32 v19, 0xffff, v19
	v_lshl_or_b32 v14, v14, 9, 0x7c00
	s_wait_alu 0xfffd
	v_cndmask_b32_e32 v13, 0x7c00, v13, vcc_lo
	v_cmp_ne_u32_e32 vcc_lo, v18, v22
	scratch_load_b32 v22, off, off th:TH_LOAD_LU ; 4-byte Folded Reload
	s_wait_loadcnt 0x1
	v_fmac_f16_e32 v12, v23, v6
	v_and_or_b32 v2, 0x1ff, v3, v2
	s_wait_alu 0xfffd
	v_cndmask_b32_e64 v7, 0, 1, vcc_lo
	v_cmp_eq_u32_e32 vcc_lo, 0x40f, v16
	v_cvt_f32_f16_e32 v12, v12
	v_mul_f16_e32 v16, v24, v6
	s_delay_alu instid0(VALU_DEP_4)
	v_or_b32_e32 v9, v9, v7
	s_wait_alu 0xfffd
	v_cndmask_b32_e32 v8, v13, v14, vcc_lo
	v_cvt_f64_f32_e32 v[11:12], v12
	v_add_nc_u32_e32 v14, 0xfffffc10, v20
	ds_load_b32 v13, v139 offset:7480
	v_and_or_b32 v10, 0x8000, v10, v8
	v_cmp_gt_i32_e32 vcc_lo, 1, v14
	s_wait_dscnt 0x0
	v_lshrrev_b32_e32 v18, 16, v13
	v_mul_f64_e32 v[6:7], s[8:9], v[11:12]
	v_fma_f16 v12, v23, v15, -v16
	scratch_load_b32 v23, off, off offset:8 th:TH_LOAD_LU ; 4-byte Folded Reload
	v_lshl_or_b32 v11, v14, 12, v0
	v_bfe_u32 v15, v3, 20, 11
	s_wait_alu 0xfffd
	s_delay_alu instid0(VALU_DEP_2) | instskip(SKIP_3) | instid1(VALU_DEP_4)
	v_cndmask_b32_e32 v11, v11, v9, vcc_lo
	v_cmp_ne_u32_e32 vcc_lo, 0, v2
	v_cvt_f32_f16_e32 v9, v12
	v_lshrrev_b32_e32 v12, 8, v3
	v_and_b32_e32 v16, 7, v11
	s_wait_alu 0xfffd
	v_cndmask_b32_e64 v2, 0, 1, vcc_lo
	v_cvt_f64_f32_e32 v[8:9], v9
	s_delay_alu instid0(VALU_DEP_3) | instskip(NEXT) | instid1(VALU_DEP_3)
	v_cmp_lt_i32_e32 vcc_lo, 5, v16
	v_and_or_b32 v2, 0xffe, v12, v2
	v_sub_nc_u32_e32 v12, 0x3f1, v15
	v_cmp_eq_u32_e64 s0, 3, v16
	v_lshl_or_b32 v16, v10, 16, v19
	v_lshrrev_b32_e32 v10, 2, v11
	v_or_b32_e32 v20, 0x1000, v2
	v_med3_i32 v12, v12, 0, 13
	s_or_b32 vcc_lo, s0, vcc_lo
	v_add_nc_u32_e32 v15, 0xfffffc10, v15
	s_wait_alu 0xfffe
	v_add_co_ci_u32_e32 v10, vcc_lo, 0, v10, vcc_lo
	v_lshrrev_b32_e32 v19, v12, v20
	v_cmp_ne_u32_e32 vcc_lo, 0, v0
	s_delay_alu instid0(VALU_DEP_2) | instskip(SKIP_4) | instid1(VALU_DEP_3)
	v_lshlrev_b32_e32 v12, v12, v19
	s_wait_alu 0xfffd
	v_cndmask_b32_e64 v0, 0, 1, vcc_lo
	v_cmp_gt_i32_e32 vcc_lo, 31, v14
	v_and_or_b32 v6, 0x1ff, v7, v6
	v_lshl_or_b32 v0, v0, 9, 0x7c00
	v_mul_f64_e32 v[8:9], s[8:9], v[8:9]
	s_delay_alu instid0(VALU_DEP_1) | instskip(SKIP_2) | instid1(VALU_DEP_1)
	v_and_or_b32 v8, 0x1ff, v9, v8
	s_wait_loadcnt 0x0
	v_mul_f16_e32 v21, v23, v18
	v_fmac_f16_e32 v21, v22, v13
	v_mul_f16_e32 v13, v23, v13
	s_delay_alu instid0(VALU_DEP_2)
	v_cvt_f32_f16_e32 v11, v21
	s_wait_alu 0xfffd
	v_cndmask_b32_e32 v21, 0x7c00, v10, vcc_lo
	v_cmp_ne_u32_e32 vcc_lo, v12, v20
	v_lshrrev_b32_e32 v20, 8, v7
	v_fma_f16 v13, v22, v18, -v13
	v_cvt_f64_f32_e32 v[10:11], v11
	v_lshl_or_b32 v18, v15, 12, v2
	s_wait_alu 0xfffd
	v_cndmask_b32_e64 v12, 0, 1, vcc_lo
	v_cmp_ne_u32_e32 vcc_lo, 0, v6
	v_cvt_f32_f16_e32 v13, v13
	s_delay_alu instid0(VALU_DEP_3)
	v_or_b32_e32 v12, v19, v12
	s_wait_alu 0xfffd
	v_cndmask_b32_e64 v6, 0, 1, vcc_lo
	v_bfe_u32 v19, v7, 20, 11
	v_cmp_gt_i32_e32 vcc_lo, 1, v15
	v_lshrrev_b32_e32 v7, 16, v7
	s_delay_alu instid0(VALU_DEP_4) | instskip(NEXT) | instid1(VALU_DEP_4)
	v_and_or_b32 v6, 0xffe, v20, v6
	v_sub_nc_u32_e32 v20, 0x3f1, v19
	s_wait_alu 0xfffd
	v_cndmask_b32_e32 v18, v18, v12, vcc_lo
	v_cmp_eq_u32_e32 vcc_lo, 0x40f, v14
	v_cvt_f64_f32_e32 v[12:13], v13
	v_or_b32_e32 v22, 0x1000, v6
	v_med3_i32 v20, v20, 0, 13
	s_wait_alu 0xfffd
	v_dual_cndmask_b32 v14, v21, v0 :: v_dual_and_b32 v23, 7, v18
	v_add_co_u32 v0, vcc_lo, v4, s2
	s_delay_alu instid0(VALU_DEP_3)
	v_lshrrev_b32_e32 v24, v20, v22
	v_lshrrev_b32_e32 v21, 16, v1
	s_wait_alu 0xfffd
	v_add_co_ci_u32_e32 v1, vcc_lo, s3, v5, vcc_lo
	v_cmp_lt_i32_e32 vcc_lo, 5, v23
	v_cmp_eq_u32_e64 s0, 3, v23
	v_lshrrev_b32_e32 v18, 2, v18
	v_lshlrev_b32_e32 v20, v20, v24
	v_add_nc_u32_e32 v19, 0xfffffc10, v19
	v_and_or_b32 v14, 0x8000, v21, v14
	s_or_b32 vcc_lo, s0, vcc_lo
	s_wait_alu 0xfffe
	v_add_co_ci_u32_e32 v18, vcc_lo, 0, v18, vcc_lo
	v_cmp_ne_u32_e64 s1, v20, v22
	v_cmp_ne_u32_e32 vcc_lo, 0, v2
	v_mul_f64_e32 v[10:11], s[8:9], v[10:11]
	v_lshl_or_b32 v21, v19, 12, v6
	v_and_b32_e32 v14, 0xffff, v14
	s_wait_alu 0xf1ff
	v_cndmask_b32_e64 v20, 0, 1, s1
	s_wait_alu 0xfffd
	v_cndmask_b32_e64 v2, 0, 1, vcc_lo
	v_cmp_gt_i32_e32 vcc_lo, 31, v15
	v_lshrrev_b32_e32 v22, 8, v9
	v_or_b32_e32 v20, v24, v20
	s_delay_alu instid0(VALU_DEP_4)
	v_lshl_or_b32 v2, v2, 9, 0x7c00
	s_wait_alu 0xfffd
	v_cndmask_b32_e32 v18, 0x7c00, v18, vcc_lo
	v_cmp_gt_i32_e32 vcc_lo, 1, v19
	s_wait_alu 0xfffd
	v_cndmask_b32_e32 v20, v21, v20, vcc_lo
	v_cmp_eq_u32_e32 vcc_lo, 0x40f, v15
	s_delay_alu instid0(VALU_DEP_2)
	v_and_b32_e32 v21, 7, v20
	s_wait_alu 0xfffd
	v_cndmask_b32_e32 v15, v18, v2, vcc_lo
	v_lshrrev_b32_e32 v18, 16, v3
	v_cmp_ne_u32_e32 vcc_lo, 0, v8
	v_mul_f64_e32 v[2:3], s[8:9], v[12:13]
	v_bfe_u32 v12, v9, 20, 11
	v_cmp_eq_u32_e64 s0, 3, v21
	v_and_or_b32 v13, 0x8000, v18, v15
	s_wait_alu 0xfffd
	v_cndmask_b32_e64 v8, 0, 1, vcc_lo
	v_cmp_lt_i32_e32 vcc_lo, 5, v21
	v_sub_nc_u32_e32 v15, 0x3f1, v12
	v_add_nc_u32_e32 v12, 0xfffffc10, v12
	v_lshl_or_b32 v13, v13, 16, v14
	v_lshrrev_b32_e32 v14, 2, v20
	v_and_or_b32 v8, 0xffe, v22, v8
	s_or_b32 vcc_lo, s0, vcc_lo
	v_med3_i32 v15, v15, 0, 13
	v_and_or_b32 v10, 0x1ff, v11, v10
	s_wait_alu 0xfffe
	v_add_co_ci_u32_e32 v14, vcc_lo, 0, v14, vcc_lo
	v_or_b32_e32 v18, 0x1000, v8
	v_cmp_ne_u32_e32 vcc_lo, 0, v6
	v_lshrrev_b32_e32 v21, 8, v11
	v_bfe_u32 v22, v11, 20, 11
	v_lshrrev_b32_e32 v9, 16, v9
	v_lshrrev_b32_e32 v20, v15, v18
	s_wait_alu 0xfffd
	v_cndmask_b32_e64 v6, 0, 1, vcc_lo
	v_cmp_gt_i32_e32 vcc_lo, 31, v19
	v_lshrrev_b32_e32 v11, 16, v11
	v_lshlrev_b32_e32 v15, v15, v20
	s_delay_alu instid0(VALU_DEP_4)
	v_lshl_or_b32 v6, v6, 9, 0x7c00
	s_wait_alu 0xfffd
	v_cndmask_b32_e32 v14, 0x7c00, v14, vcc_lo
	v_cmp_ne_u32_e32 vcc_lo, 0, v10
	s_wait_alu 0xfffd
	v_cndmask_b32_e64 v10, 0, 1, vcc_lo
	v_cmp_ne_u32_e32 vcc_lo, v15, v18
	v_sub_nc_u32_e32 v18, 0x3f1, v22
	v_and_or_b32 v2, 0x1ff, v3, v2
	s_delay_alu instid0(VALU_DEP_4)
	v_and_or_b32 v10, 0xffe, v21, v10
	s_wait_alu 0xfffd
	v_cndmask_b32_e64 v15, 0, 1, vcc_lo
	v_cmp_eq_u32_e32 vcc_lo, 0x40f, v19
	v_med3_i32 v18, v18, 0, 13
	v_bfe_u32 v21, v3, 20, 11
	v_or_b32_e32 v19, 0x1000, v10
	s_wait_alu 0xfffd
	v_cndmask_b32_e32 v6, v14, v6, vcc_lo
	v_or_b32_e32 v14, v20, v15
	v_lshl_or_b32 v15, v12, 12, v8
	v_cmp_gt_i32_e32 vcc_lo, 1, v12
	v_lshrrev_b32_e32 v20, 8, v3
	v_and_or_b32 v6, 0x8000, v7, v6
	v_sub_nc_u32_e32 v7, 0x3f1, v21
	s_wait_alu 0xfffd
	v_cndmask_b32_e32 v14, v15, v14, vcc_lo
	v_lshrrev_b32_e32 v15, v18, v19
	v_cmp_ne_u32_e32 vcc_lo, 0, v2
	v_med3_i32 v7, v7, 0, 13
	v_and_b32_e32 v6, 0xffff, v6
	v_and_b32_e32 v23, 7, v14
	v_lshlrev_b32_e32 v18, v18, v15
	s_wait_alu 0xfffd
	v_cndmask_b32_e64 v2, 0, 1, vcc_lo
	v_lshrrev_b32_e32 v14, 2, v14
	v_cmp_lt_i32_e32 vcc_lo, 5, v23
	v_cmp_ne_u32_e64 s0, v18, v19
	s_delay_alu instid0(VALU_DEP_4) | instskip(SKIP_2) | instid1(VALU_DEP_3)
	v_and_or_b32 v2, 0xffe, v20, v2
	v_add_nc_u32_e32 v20, 0xfffffc10, v22
	s_wait_alu 0xf1ff
	v_cndmask_b32_e64 v18, 0, 1, s0
	v_cmp_eq_u32_e64 s0, 3, v23
	v_or_b32_e32 v19, 0x1000, v2
	v_lshl_or_b32 v22, v20, 12, v10
	s_delay_alu instid0(VALU_DEP_4) | instskip(NEXT) | instid1(VALU_DEP_4)
	v_or_b32_e32 v15, v15, v18
	s_or_b32 vcc_lo, s0, vcc_lo
	s_delay_alu instid0(VALU_DEP_3) | instskip(SKIP_3) | instid1(VALU_DEP_3)
	v_lshrrev_b32_e32 v18, v7, v19
	s_wait_alu 0xfffe
	v_add_co_ci_u32_e32 v14, vcc_lo, 0, v14, vcc_lo
	v_cmp_gt_i32_e32 vcc_lo, 1, v20
	v_lshlrev_b32_e32 v7, v7, v18
	s_wait_alu 0xfffd
	v_cndmask_b32_e32 v15, v22, v15, vcc_lo
	v_cmp_ne_u32_e32 vcc_lo, 0, v8
	s_wait_alu 0xfffd
	v_cndmask_b32_e64 v8, 0, 1, vcc_lo
	v_cmp_ne_u32_e32 vcc_lo, v7, v19
	v_add_nc_u32_e32 v19, 0xfffffc10, v21
	v_and_b32_e32 v21, 7, v15
	s_delay_alu instid0(VALU_DEP_4)
	v_lshl_or_b32 v8, v8, 9, 0x7c00
	s_wait_alu 0xfffd
	v_cndmask_b32_e64 v7, 0, 1, vcc_lo
	v_cmp_gt_i32_e32 vcc_lo, 31, v12
	v_cmp_gt_i32_e64 s1, 1, v19
	v_cmp_eq_u32_e64 s0, 3, v21
	s_delay_alu instid0(VALU_DEP_4)
	v_or_b32_e32 v7, v18, v7
	v_lshl_or_b32 v18, v19, 12, v2
	s_wait_alu 0xfffd
	v_cndmask_b32_e32 v14, 0x7c00, v14, vcc_lo
	v_cmp_lt_i32_e32 vcc_lo, 5, v21
	s_wait_alu 0xf1ff
	v_cndmask_b32_e64 v7, v18, v7, s1
	v_cmp_eq_u32_e64 s1, 0x40f, v12
	v_lshrrev_b32_e32 v12, 2, v15
	s_or_b32 vcc_lo, s0, vcc_lo
	s_delay_alu instid0(VALU_DEP_2) | instskip(SKIP_1) | instid1(VALU_DEP_2)
	v_cndmask_b32_e64 v8, v14, v8, s1
	s_wait_alu 0xfffe
	v_add_co_ci_u32_e32 v12, vcc_lo, 0, v12, vcc_lo
	v_and_b32_e32 v14, 7, v7
	v_cmp_ne_u32_e32 vcc_lo, 0, v10
	v_lshrrev_b32_e32 v7, 2, v7
	v_cmp_gt_i32_e64 s1, 31, v20
	v_and_or_b32 v8, 0x8000, v9, v8
	v_cmp_eq_u32_e64 s0, 3, v14
	s_wait_alu 0xfffd
	v_cndmask_b32_e64 v10, 0, 1, vcc_lo
	v_cmp_lt_i32_e32 vcc_lo, 5, v14
	s_wait_alu 0xf1ff
	v_cndmask_b32_e64 v12, 0x7c00, v12, s1
	s_delay_alu instid0(VALU_DEP_3)
	v_lshl_or_b32 v10, v10, 9, 0x7c00
	s_or_b32 vcc_lo, s0, vcc_lo
	s_wait_alu 0xfffe
	v_add_co_ci_u32_e32 v7, vcc_lo, 0, v7, vcc_lo
	v_cmp_ne_u32_e32 vcc_lo, 0, v2
	s_wait_alu 0xfffd
	v_cndmask_b32_e64 v2, 0, 1, vcc_lo
	v_cmp_eq_u32_e32 vcc_lo, 0x40f, v20
	s_delay_alu instid0(VALU_DEP_2) | instskip(SKIP_3) | instid1(VALU_DEP_2)
	v_lshl_or_b32 v2, v2, 9, 0x7c00
	s_wait_alu 0xfffd
	v_cndmask_b32_e32 v10, v12, v10, vcc_lo
	v_cmp_gt_i32_e32 vcc_lo, 31, v19
	v_and_or_b32 v9, 0x8000, v11, v10
	s_wait_alu 0xfffd
	v_cndmask_b32_e32 v7, 0x7c00, v7, vcc_lo
	v_cmp_eq_u32_e32 vcc_lo, 0x40f, v19
	v_lshrrev_b32_e32 v10, 16, v3
	v_lshl_or_b32 v11, v8, 16, v6
	v_and_b32_e32 v9, 0xffff, v9
	s_wait_alu 0xfffd
	v_cndmask_b32_e32 v7, v7, v2, vcc_lo
	v_add_co_u32 v2, vcc_lo, v0, s2
	s_wait_alu 0xfffd
	v_add_co_ci_u32_e32 v3, vcc_lo, s3, v1, vcc_lo
	s_delay_alu instid0(VALU_DEP_3) | instskip(NEXT) | instid1(VALU_DEP_3)
	v_and_or_b32 v8, 0x8000, v10, v7
	v_add_co_u32 v6, vcc_lo, v2, s2
	s_wait_alu 0xfffd
	s_delay_alu instid0(VALU_DEP_3) | instskip(NEXT) | instid1(VALU_DEP_3)
	v_add_co_ci_u32_e32 v7, vcc_lo, s3, v3, vcc_lo
	v_lshl_or_b32 v10, v8, 16, v9
	s_delay_alu instid0(VALU_DEP_3) | instskip(SKIP_1) | instid1(VALU_DEP_3)
	v_add_co_u32 v8, vcc_lo, v6, s2
	s_wait_alu 0xfffd
	v_add_co_ci_u32_e32 v9, vcc_lo, s3, v7, vcc_lo
	global_store_b32 v[4:5], v17, off
	global_store_b32 v[0:1], v16, off
	;; [unrolled: 1-line block ×5, first 2 shown]
.LBB0_10:
	s_nop 0
	s_sendmsg sendmsg(MSG_DEALLOC_VGPRS)
	s_endpgm
	.section	.rodata,"a",@progbits
	.p2align	6, 0x0
	.amdhsa_kernel bluestein_single_fwd_len1925_dim1_half_op_CI_CI
		.amdhsa_group_segment_fixed_size 7700
		.amdhsa_private_segment_fixed_size 180
		.amdhsa_kernarg_size 104
		.amdhsa_user_sgpr_count 2
		.amdhsa_user_sgpr_dispatch_ptr 0
		.amdhsa_user_sgpr_queue_ptr 0
		.amdhsa_user_sgpr_kernarg_segment_ptr 1
		.amdhsa_user_sgpr_dispatch_id 0
		.amdhsa_user_sgpr_private_segment_size 0
		.amdhsa_wavefront_size32 1
		.amdhsa_uses_dynamic_stack 0
		.amdhsa_enable_private_segment 1
		.amdhsa_system_sgpr_workgroup_id_x 1
		.amdhsa_system_sgpr_workgroup_id_y 0
		.amdhsa_system_sgpr_workgroup_id_z 0
		.amdhsa_system_sgpr_workgroup_info 0
		.amdhsa_system_vgpr_workitem_id 0
		.amdhsa_next_free_vgpr 256
		.amdhsa_next_free_sgpr 20
		.amdhsa_reserve_vcc 1
		.amdhsa_float_round_mode_32 0
		.amdhsa_float_round_mode_16_64 0
		.amdhsa_float_denorm_mode_32 3
		.amdhsa_float_denorm_mode_16_64 3
		.amdhsa_fp16_overflow 0
		.amdhsa_workgroup_processor_mode 1
		.amdhsa_memory_ordered 1
		.amdhsa_forward_progress 0
		.amdhsa_round_robin_scheduling 0
		.amdhsa_exception_fp_ieee_invalid_op 0
		.amdhsa_exception_fp_denorm_src 0
		.amdhsa_exception_fp_ieee_div_zero 0
		.amdhsa_exception_fp_ieee_overflow 0
		.amdhsa_exception_fp_ieee_underflow 0
		.amdhsa_exception_fp_ieee_inexact 0
		.amdhsa_exception_int_div_zero 0
	.end_amdhsa_kernel
	.text
.Lfunc_end0:
	.size	bluestein_single_fwd_len1925_dim1_half_op_CI_CI, .Lfunc_end0-bluestein_single_fwd_len1925_dim1_half_op_CI_CI
                                        ; -- End function
	.section	.AMDGPU.csdata,"",@progbits
; Kernel info:
; codeLenInByte = 80900
; NumSgprs: 22
; NumVgprs: 256
; ScratchSize: 180
; MemoryBound: 0
; FloatMode: 240
; IeeeMode: 1
; LDSByteSize: 7700 bytes/workgroup (compile time only)
; SGPRBlocks: 2
; VGPRBlocks: 31
; NumSGPRsForWavesPerEU: 22
; NumVGPRsForWavesPerEU: 256
; Occupancy: 5
; WaveLimiterHint : 1
; COMPUTE_PGM_RSRC2:SCRATCH_EN: 1
; COMPUTE_PGM_RSRC2:USER_SGPR: 2
; COMPUTE_PGM_RSRC2:TRAP_HANDLER: 0
; COMPUTE_PGM_RSRC2:TGID_X_EN: 1
; COMPUTE_PGM_RSRC2:TGID_Y_EN: 0
; COMPUTE_PGM_RSRC2:TGID_Z_EN: 0
; COMPUTE_PGM_RSRC2:TIDIG_COMP_CNT: 0
	.text
	.p2alignl 7, 3214868480
	.fill 96, 4, 3214868480
	.type	__hip_cuid_933814d4974c0604,@object ; @__hip_cuid_933814d4974c0604
	.section	.bss,"aw",@nobits
	.globl	__hip_cuid_933814d4974c0604
__hip_cuid_933814d4974c0604:
	.byte	0                               ; 0x0
	.size	__hip_cuid_933814d4974c0604, 1

	.ident	"AMD clang version 19.0.0git (https://github.com/RadeonOpenCompute/llvm-project roc-6.4.0 25133 c7fe45cf4b819c5991fe208aaa96edf142730f1d)"
	.section	".note.GNU-stack","",@progbits
	.addrsig
	.addrsig_sym __hip_cuid_933814d4974c0604
	.amdgpu_metadata
---
amdhsa.kernels:
  - .args:
      - .actual_access:  read_only
        .address_space:  global
        .offset:         0
        .size:           8
        .value_kind:     global_buffer
      - .actual_access:  read_only
        .address_space:  global
        .offset:         8
        .size:           8
        .value_kind:     global_buffer
      - .actual_access:  read_only
        .address_space:  global
        .offset:         16
        .size:           8
        .value_kind:     global_buffer
      - .actual_access:  read_only
        .address_space:  global
        .offset:         24
        .size:           8
        .value_kind:     global_buffer
      - .actual_access:  read_only
        .address_space:  global
        .offset:         32
        .size:           8
        .value_kind:     global_buffer
      - .offset:         40
        .size:           8
        .value_kind:     by_value
      - .address_space:  global
        .offset:         48
        .size:           8
        .value_kind:     global_buffer
      - .address_space:  global
        .offset:         56
        .size:           8
        .value_kind:     global_buffer
      - .address_space:  global
        .offset:         64
        .size:           8
        .value_kind:     global_buffer
      - .address_space:  global
        .offset:         72
        .size:           8
        .value_kind:     global_buffer
      - .offset:         80
        .size:           4
        .value_kind:     by_value
      - .address_space:  global
        .offset:         88
        .size:           8
        .value_kind:     global_buffer
      - .address_space:  global
        .offset:         96
        .size:           8
        .value_kind:     global_buffer
    .group_segment_fixed_size: 7700
    .kernarg_segment_align: 8
    .kernarg_segment_size: 104
    .language:       OpenCL C
    .language_version:
      - 2
      - 0
    .max_flat_workgroup_size: 55
    .name:           bluestein_single_fwd_len1925_dim1_half_op_CI_CI
    .private_segment_fixed_size: 180
    .sgpr_count:     22
    .sgpr_spill_count: 0
    .symbol:         bluestein_single_fwd_len1925_dim1_half_op_CI_CI.kd
    .uniform_work_group_size: 1
    .uses_dynamic_stack: false
    .vgpr_count:     256
    .vgpr_spill_count: 44
    .wavefront_size: 32
    .workgroup_processor_mode: 1
amdhsa.target:   amdgcn-amd-amdhsa--gfx1201
amdhsa.version:
  - 1
  - 2
...

	.end_amdgpu_metadata
